;; amdgpu-corpus repo=pytorch/pytorch kind=compiled arch=gfx906 opt=O3
	.amdgcn_target "amdgcn-amd-amdhsa--gfx906"
	.amdhsa_code_object_version 6
	.section	.text._ZN2at6native26_fft_conjugate_copy_kernelIN3c107complexIdEE16OffsetCalculatorILi1ElLb0EENS0_33HermitianSymmetryOffsetCalculatorIlEEEEvlPT_PKS9_T0_T1_,"axG",@progbits,_ZN2at6native26_fft_conjugate_copy_kernelIN3c107complexIdEE16OffsetCalculatorILi1ElLb0EENS0_33HermitianSymmetryOffsetCalculatorIlEEEEvlPT_PKS9_T0_T1_,comdat
	.protected	_ZN2at6native26_fft_conjugate_copy_kernelIN3c107complexIdEE16OffsetCalculatorILi1ElLb0EENS0_33HermitianSymmetryOffsetCalculatorIlEEEEvlPT_PKS9_T0_T1_ ; -- Begin function _ZN2at6native26_fft_conjugate_copy_kernelIN3c107complexIdEE16OffsetCalculatorILi1ElLb0EENS0_33HermitianSymmetryOffsetCalculatorIlEEEEvlPT_PKS9_T0_T1_
	.globl	_ZN2at6native26_fft_conjugate_copy_kernelIN3c107complexIdEE16OffsetCalculatorILi1ElLb0EENS0_33HermitianSymmetryOffsetCalculatorIlEEEEvlPT_PKS9_T0_T1_
	.p2align	8
	.type	_ZN2at6native26_fft_conjugate_copy_kernelIN3c107complexIdEE16OffsetCalculatorILi1ElLb0EENS0_33HermitianSymmetryOffsetCalculatorIlEEEEvlPT_PKS9_T0_T1_,@function
_ZN2at6native26_fft_conjugate_copy_kernelIN3c107complexIdEE16OffsetCalculatorILi1ElLb0EENS0_33HermitianSymmetryOffsetCalculatorIlEEEEvlPT_PKS9_T0_T1_: ; @_ZN2at6native26_fft_conjugate_copy_kernelIN3c107complexIdEE16OffsetCalculatorILi1ElLb0EENS0_33HermitianSymmetryOffsetCalculatorIlEEEEvlPT_PKS9_T0_T1_
; %bb.0:
	s_load_dword s2, s[4:5], 0x23c
	s_load_dwordx4 s[12:15], s[4:5], 0x0
	s_add_u32 s0, s4, 0x230
	v_mov_b32_e32 v2, 0
	s_addc_u32 s1, s5, 0
	s_waitcnt lgkmcnt(0)
	s_and_b32 s2, s2, 0xffff
	v_mov_b32_e32 v1, v2
	v_mov_b32_e32 v3, s6
	v_mad_u64_u32 v[0:1], s[6:7], s2, v3, v[0:1]
	v_cmp_gt_i64_e32 vcc, s[12:13], v[0:1]
	s_and_saveexec_b64 s[6:7], vcc
	s_cbranch_execz .LBB0_59
; %bb.1:
	s_load_dword s3, s[4:5], 0x18
	s_load_dwordx2 s[10:11], s[4:5], 0x10
	s_load_dword s8, s[0:1], 0x0
	s_load_dword s33, s[4:5], 0x120
	s_load_dwordx4 s[16:19], s[4:5], 0x20
	s_load_dwordx4 s[20:23], s[4:5], 0xa0
	s_load_dword s58, s[4:5], 0x228
	s_waitcnt lgkmcnt(0)
	v_sub_co_u32_e64 v3, s[0:1], s3, 1
	s_xor_b64 s[6:7], s[0:1], -1
	v_readfirstlane_b32 s0, v3
	s_add_u32 s24, s4, 32
	s_addc_u32 s25, s5, 0
	s_min_u32 s0, s0, 15
	s_cmp_gt_u32 s3, 1
	s_cselect_b64 s[26:27], -1, 0
	s_cmp_gt_i32 s33, 0
	s_cselect_b64 s[28:29], -1, 0
	s_mul_i32 s59, s8, s2
	s_add_i32 s2, s0, 1
	s_and_b32 s60, s2, 3
	s_and_b32 s61, s2, 28
	s_cmp_lg_u32 s60, 0
	v_cmp_lt_u32_e32 vcc, 1, v3
	v_cmp_ne_u32_e64 s[0:1], 2, v3
	s_cselect_b64 s[30:31], -1, 0
	s_add_u32 s34, s4, 0x128
	v_cndmask_b32_e64 v3, 0, 1, vcc
	v_cndmask_b32_e64 v4, 0, 1, s[6:7]
	s_addc_u32 s35, s5, 0
	s_mov_b64 s[36:37], 0
	v_cmp_ne_u32_e64 s[2:3], 1, v3
	v_cmp_ne_u32_e64 s[4:5], 1, v4
	s_branch .LBB0_4
.LBB0_2:                                ;   in Loop: Header=BB0_4 Depth=1
	v_mov_b32_e32 v6, 0
	v_mov_b32_e32 v7, 0
.LBB0_3:                                ;   in Loop: Header=BB0_4 Depth=1
	v_lshlrev_b64 v[3:4], 4, v[4:5]
	v_mov_b32_e32 v5, s11
	v_add_co_u32_e32 v3, vcc, s10, v3
	v_addc_co_u32_e32 v4, vcc, v5, v4, vcc
	global_load_dwordx4 v[8:11], v[3:4], off
	v_add_co_u32_e32 v0, vcc, s59, v0
	v_lshlrev_b64 v[3:4], 4, v[6:7]
	v_addc_co_u32_e32 v1, vcc, 0, v1, vcc
	v_cmp_le_i64_e32 vcc, s[12:13], v[0:1]
	v_mov_b32_e32 v5, s15
	v_add_co_u32_e64 v3, s[6:7], s14, v3
	v_addc_co_u32_e64 v4, s[6:7], v5, v4, s[6:7]
	s_or_b64 s[36:37], vcc, s[36:37]
	s_waitcnt vmcnt(0)
	v_xor_b32_e32 v11, 0x80000000, v11
	global_store_dwordx4 v[3:4], v[8:11], off
	s_andn2_b64 exec, exec, s[36:37]
	s_cbranch_execz .LBB0_59
.LBB0_4:                                ; =>This Loop Header: Depth=1
                                        ;     Child Loop BB0_7 Depth 2
                                        ;     Child Loop BB0_29 Depth 2
	;; [unrolled: 1-line block ×3, first 2 shown]
	s_and_b64 vcc, exec, s[2:3]
	s_mov_b64 s[6:7], -1
                                        ; implicit-def: $vgpr4_vgpr5
	s_cbranch_vccnz .LBB0_34
; %bb.5:                                ;   in Loop: Header=BB0_4 Depth=1
	v_mov_b32_e32 v4, 0
	v_mov_b32_e32 v5, 0
	s_and_b64 vcc, exec, s[4:5]
	s_cbranch_vccnz .LBB0_33
; %bb.6:                                ;   in Loop: Header=BB0_4 Depth=1
	v_mov_b32_e32 v4, 0
	v_mov_b32_e32 v7, v1
	;; [unrolled: 1-line block ×4, first 2 shown]
	s_mov_b32 s62, 0
	s_and_b64 vcc, exec, s[0:1]
	s_mov_b64 s[8:9], s[24:25]
	v_mov_b32_e32 v6, v0
	v_mov_b32_e32 v12, v0
	s_cbranch_vccz .LBB0_26
.LBB0_7:                                ;   Parent Loop BB0_4 Depth=1
                                        ; =>  This Inner Loop Header: Depth=2
	s_load_dwordx2 s[38:39], s[8:9], 0x0
                                        ; implicit-def: $vgpr8_vgpr9
	s_waitcnt lgkmcnt(0)
	v_or_b32_e32 v3, s39, v7
	v_cmp_ne_u64_e32 vcc, 0, v[2:3]
	s_and_saveexec_b64 s[6:7], vcc
	s_xor_b64 s[40:41], exec, s[6:7]
	s_cbranch_execz .LBB0_9
; %bb.8:                                ;   in Loop: Header=BB0_7 Depth=2
	s_ashr_i32 s42, s39, 31
	s_add_u32 s6, s38, s42
	s_mov_b32 s43, s42
	s_addc_u32 s7, s39, s42
	s_xor_b64 s[44:45], s[6:7], s[42:43]
	v_cvt_f32_u32_e32 v3, s44
	v_cvt_f32_u32_e32 v8, s45
	s_sub_u32 s43, 0, s44
	s_subb_u32 s46, 0, s45
	v_mac_f32_e32 v3, 0x4f800000, v8
	v_rcp_f32_e32 v3, v3
	v_mul_f32_e32 v3, 0x5f7ffffc, v3
	v_mul_f32_e32 v8, 0x2f800000, v3
	v_trunc_f32_e32 v8, v8
	v_mac_f32_e32 v3, 0xcf800000, v8
	v_cvt_u32_f32_e32 v8, v8
	v_cvt_u32_f32_e32 v3, v3
	v_readfirstlane_b32 s47, v8
	v_readfirstlane_b32 s6, v3
	s_mul_i32 s7, s43, s47
	s_mul_hi_u32 s49, s43, s6
	s_mul_i32 s48, s46, s6
	s_add_i32 s7, s49, s7
	s_add_i32 s7, s7, s48
	s_mul_i32 s50, s43, s6
	s_mul_i32 s49, s6, s7
	s_mul_hi_u32 s51, s6, s50
	s_mul_hi_u32 s48, s6, s7
	s_add_u32 s49, s51, s49
	s_addc_u32 s48, 0, s48
	s_mul_hi_u32 s52, s47, s50
	s_mul_i32 s50, s47, s50
	s_add_u32 s49, s49, s50
	s_mul_hi_u32 s51, s47, s7
	s_addc_u32 s48, s48, s52
	s_addc_u32 s49, s51, 0
	s_mul_i32 s7, s47, s7
	s_add_u32 s7, s48, s7
	s_addc_u32 s48, 0, s49
	s_add_u32 s49, s6, s7
	s_cselect_b64 s[6:7], -1, 0
	s_cmp_lg_u64 s[6:7], 0
	s_addc_u32 s47, s47, s48
	s_mul_i32 s6, s43, s47
	s_mul_hi_u32 s7, s43, s49
	s_add_i32 s6, s7, s6
	s_mul_i32 s46, s46, s49
	s_add_i32 s6, s6, s46
	s_mul_i32 s43, s43, s49
	s_mul_hi_u32 s46, s47, s43
	s_mul_i32 s48, s47, s43
	s_mul_i32 s51, s49, s6
	s_mul_hi_u32 s43, s49, s43
	s_mul_hi_u32 s50, s49, s6
	s_add_u32 s43, s43, s51
	s_addc_u32 s50, 0, s50
	s_add_u32 s43, s43, s48
	s_mul_hi_u32 s7, s47, s6
	s_addc_u32 s43, s50, s46
	s_addc_u32 s7, s7, 0
	s_mul_i32 s6, s47, s6
	s_add_u32 s6, s43, s6
	s_addc_u32 s43, 0, s7
	s_add_u32 s46, s49, s6
	s_cselect_b64 s[6:7], -1, 0
	v_ashrrev_i32_e32 v3, 31, v7
	s_cmp_lg_u64 s[6:7], 0
	v_add_co_u32_e32 v8, vcc, v6, v3
	s_addc_u32 s43, s47, s43
	v_xor_b32_e32 v12, v8, v3
	v_mad_u64_u32 v[8:9], s[6:7], v12, s43, 0
	v_mul_hi_u32 v11, v12, s46
	v_addc_co_u32_e32 v10, vcc, v7, v3, vcc
	v_xor_b32_e32 v13, v10, v3
	v_add_co_u32_e32 v14, vcc, v11, v8
	v_addc_co_u32_e32 v15, vcc, 0, v9, vcc
	v_mad_u64_u32 v[8:9], s[6:7], v13, s46, 0
	v_mad_u64_u32 v[10:11], s[6:7], v13, s43, 0
	v_add_co_u32_e32 v8, vcc, v14, v8
	v_addc_co_u32_e32 v8, vcc, v15, v9, vcc
	v_addc_co_u32_e32 v9, vcc, 0, v11, vcc
	v_add_co_u32_e32 v10, vcc, v8, v10
	v_addc_co_u32_e32 v11, vcc, 0, v9, vcc
	v_mul_lo_u32 v14, s45, v10
	v_mul_lo_u32 v15, s44, v11
	v_mad_u64_u32 v[8:9], s[6:7], s44, v10, 0
	v_xor_b32_e32 v3, s42, v3
	v_add3_u32 v9, v9, v15, v14
	v_sub_u32_e32 v14, v13, v9
	v_mov_b32_e32 v15, s45
	v_sub_co_u32_e32 v8, vcc, v12, v8
	v_subb_co_u32_e64 v12, s[6:7], v14, v15, vcc
	v_subrev_co_u32_e64 v14, s[6:7], s44, v8
	v_subbrev_co_u32_e64 v12, s[6:7], 0, v12, s[6:7]
	v_cmp_le_u32_e64 s[6:7], s45, v12
	v_cndmask_b32_e64 v15, 0, -1, s[6:7]
	v_cmp_le_u32_e64 s[6:7], s44, v14
	v_cndmask_b32_e64 v14, 0, -1, s[6:7]
	v_cmp_eq_u32_e64 s[6:7], s45, v12
	v_cndmask_b32_e64 v12, v15, v14, s[6:7]
	v_add_co_u32_e64 v14, s[6:7], 2, v10
	v_subb_co_u32_e32 v9, vcc, v13, v9, vcc
	v_addc_co_u32_e64 v15, s[6:7], 0, v11, s[6:7]
	v_cmp_le_u32_e32 vcc, s45, v9
	v_add_co_u32_e64 v16, s[6:7], 1, v10
	v_cndmask_b32_e64 v13, 0, -1, vcc
	v_cmp_le_u32_e32 vcc, s44, v8
	v_addc_co_u32_e64 v17, s[6:7], 0, v11, s[6:7]
	v_cndmask_b32_e64 v8, 0, -1, vcc
	v_cmp_eq_u32_e32 vcc, s45, v9
	v_cmp_ne_u32_e64 s[6:7], 0, v12
	v_cndmask_b32_e32 v8, v13, v8, vcc
	v_cndmask_b32_e64 v12, v17, v15, s[6:7]
	v_cmp_ne_u32_e32 vcc, 0, v8
	v_cndmask_b32_e64 v9, v16, v14, s[6:7]
	v_cndmask_b32_e32 v8, v11, v12, vcc
	v_cndmask_b32_e32 v9, v10, v9, vcc
	v_xor_b32_e32 v10, v8, v3
	v_xor_b32_e32 v8, v9, v3
	v_sub_co_u32_e32 v8, vcc, v8, v3
	v_subb_co_u32_e32 v9, vcc, v10, v3, vcc
.LBB0_9:                                ;   in Loop: Header=BB0_7 Depth=2
	s_andn2_saveexec_b64 s[6:7], s[40:41]
	s_cbranch_execz .LBB0_11
; %bb.10:                               ;   in Loop: Header=BB0_7 Depth=2
	v_cvt_f32_u32_e32 v3, s38
	s_sub_i32 s40, 0, s38
	v_rcp_iflag_f32_e32 v3, v3
	v_mul_f32_e32 v3, 0x4f7ffffe, v3
	v_cvt_u32_f32_e32 v3, v3
	v_mul_lo_u32 v8, s40, v3
	v_mul_hi_u32 v8, v3, v8
	v_add_u32_e32 v3, v3, v8
	v_mul_hi_u32 v3, v6, v3
	v_mul_lo_u32 v8, v3, s38
	v_add_u32_e32 v9, 1, v3
	v_sub_u32_e32 v8, v6, v8
	v_subrev_u32_e32 v10, s38, v8
	v_cmp_le_u32_e32 vcc, s38, v8
	v_cndmask_b32_e32 v8, v8, v10, vcc
	v_cndmask_b32_e32 v3, v3, v9, vcc
	v_add_u32_e32 v9, 1, v3
	v_cmp_le_u32_e32 vcc, s38, v8
	v_cndmask_b32_e32 v8, v3, v9, vcc
	v_mov_b32_e32 v9, v2
.LBB0_11:                               ;   in Loop: Header=BB0_7 Depth=2
	s_or_b64 exec, exec, s[6:7]
	s_load_dwordx2 s[40:41], s[8:9], 0x8
	s_load_dwordx2 s[42:43], s[8:9], 0x80
                                        ; implicit-def: $vgpr10_vgpr11
	s_waitcnt lgkmcnt(0)
	v_or_b32_e32 v3, s41, v9
	v_cmp_ne_u64_e32 vcc, 0, v[2:3]
	s_and_saveexec_b64 s[6:7], vcc
	s_xor_b64 s[44:45], exec, s[6:7]
	s_cbranch_execz .LBB0_13
; %bb.12:                               ;   in Loop: Header=BB0_7 Depth=2
	s_ashr_i32 s46, s41, 31
	s_add_u32 s6, s40, s46
	s_mov_b32 s47, s46
	s_addc_u32 s7, s41, s46
	s_xor_b64 s[48:49], s[6:7], s[46:47]
	v_cvt_f32_u32_e32 v3, s48
	v_cvt_f32_u32_e32 v10, s49
	s_sub_u32 s47, 0, s48
	s_subb_u32 s50, 0, s49
	v_mac_f32_e32 v3, 0x4f800000, v10
	v_rcp_f32_e32 v3, v3
	v_mul_f32_e32 v3, 0x5f7ffffc, v3
	v_mul_f32_e32 v10, 0x2f800000, v3
	v_trunc_f32_e32 v10, v10
	v_mac_f32_e32 v3, 0xcf800000, v10
	v_cvt_u32_f32_e32 v10, v10
	v_cvt_u32_f32_e32 v3, v3
	v_readfirstlane_b32 s51, v10
	v_readfirstlane_b32 s6, v3
	s_mul_i32 s7, s47, s51
	s_mul_hi_u32 s53, s47, s6
	s_mul_i32 s52, s50, s6
	s_add_i32 s7, s53, s7
	s_add_i32 s7, s7, s52
	s_mul_i32 s54, s47, s6
	s_mul_i32 s53, s6, s7
	s_mul_hi_u32 s55, s6, s54
	s_mul_hi_u32 s52, s6, s7
	s_add_u32 s53, s55, s53
	s_addc_u32 s52, 0, s52
	s_mul_hi_u32 s56, s51, s54
	s_mul_i32 s54, s51, s54
	s_add_u32 s53, s53, s54
	s_mul_hi_u32 s55, s51, s7
	s_addc_u32 s52, s52, s56
	s_addc_u32 s53, s55, 0
	s_mul_i32 s7, s51, s7
	s_add_u32 s7, s52, s7
	s_addc_u32 s52, 0, s53
	s_add_u32 s53, s6, s7
	s_cselect_b64 s[6:7], -1, 0
	s_cmp_lg_u64 s[6:7], 0
	s_addc_u32 s51, s51, s52
	s_mul_i32 s6, s47, s51
	s_mul_hi_u32 s7, s47, s53
	s_add_i32 s6, s7, s6
	s_mul_i32 s50, s50, s53
	s_add_i32 s6, s6, s50
	s_mul_i32 s47, s47, s53
	s_mul_hi_u32 s50, s51, s47
	s_mul_i32 s52, s51, s47
	s_mul_i32 s55, s53, s6
	s_mul_hi_u32 s47, s53, s47
	s_mul_hi_u32 s54, s53, s6
	s_add_u32 s47, s47, s55
	s_addc_u32 s54, 0, s54
	s_add_u32 s47, s47, s52
	s_mul_hi_u32 s7, s51, s6
	s_addc_u32 s47, s54, s50
	s_addc_u32 s7, s7, 0
	s_mul_i32 s6, s51, s6
	s_add_u32 s6, s47, s6
	s_addc_u32 s47, 0, s7
	s_add_u32 s50, s53, s6
	s_cselect_b64 s[6:7], -1, 0
	v_ashrrev_i32_e32 v3, 31, v9
	s_cmp_lg_u64 s[6:7], 0
	v_add_co_u32_e32 v10, vcc, v8, v3
	s_addc_u32 s47, s51, s47
	v_xor_b32_e32 v14, v10, v3
	v_mad_u64_u32 v[10:11], s[6:7], v14, s47, 0
	v_mul_hi_u32 v13, v14, s50
	v_addc_co_u32_e32 v12, vcc, v9, v3, vcc
	v_xor_b32_e32 v15, v12, v3
	v_add_co_u32_e32 v16, vcc, v13, v10
	v_addc_co_u32_e32 v17, vcc, 0, v11, vcc
	v_mad_u64_u32 v[10:11], s[6:7], v15, s50, 0
	v_mad_u64_u32 v[12:13], s[6:7], v15, s47, 0
	v_add_co_u32_e32 v10, vcc, v16, v10
	v_addc_co_u32_e32 v10, vcc, v17, v11, vcc
	v_addc_co_u32_e32 v11, vcc, 0, v13, vcc
	v_add_co_u32_e32 v12, vcc, v10, v12
	v_addc_co_u32_e32 v13, vcc, 0, v11, vcc
	v_mul_lo_u32 v16, s49, v12
	v_mul_lo_u32 v17, s48, v13
	v_mad_u64_u32 v[10:11], s[6:7], s48, v12, 0
	v_xor_b32_e32 v3, s46, v3
	v_add3_u32 v11, v11, v17, v16
	v_sub_u32_e32 v16, v15, v11
	v_mov_b32_e32 v17, s49
	v_sub_co_u32_e32 v10, vcc, v14, v10
	v_subb_co_u32_e64 v14, s[6:7], v16, v17, vcc
	v_subrev_co_u32_e64 v16, s[6:7], s48, v10
	v_subbrev_co_u32_e64 v14, s[6:7], 0, v14, s[6:7]
	v_cmp_le_u32_e64 s[6:7], s49, v14
	v_cndmask_b32_e64 v17, 0, -1, s[6:7]
	v_cmp_le_u32_e64 s[6:7], s48, v16
	v_cndmask_b32_e64 v16, 0, -1, s[6:7]
	v_cmp_eq_u32_e64 s[6:7], s49, v14
	v_cndmask_b32_e64 v14, v17, v16, s[6:7]
	v_add_co_u32_e64 v16, s[6:7], 2, v12
	v_subb_co_u32_e32 v11, vcc, v15, v11, vcc
	v_addc_co_u32_e64 v17, s[6:7], 0, v13, s[6:7]
	v_cmp_le_u32_e32 vcc, s49, v11
	v_add_co_u32_e64 v18, s[6:7], 1, v12
	v_cndmask_b32_e64 v15, 0, -1, vcc
	v_cmp_le_u32_e32 vcc, s48, v10
	v_addc_co_u32_e64 v19, s[6:7], 0, v13, s[6:7]
	v_cndmask_b32_e64 v10, 0, -1, vcc
	v_cmp_eq_u32_e32 vcc, s49, v11
	v_cmp_ne_u32_e64 s[6:7], 0, v14
	v_cndmask_b32_e32 v10, v15, v10, vcc
	v_cndmask_b32_e64 v14, v19, v17, s[6:7]
	v_cmp_ne_u32_e32 vcc, 0, v10
	v_cndmask_b32_e64 v11, v18, v16, s[6:7]
	v_cndmask_b32_e32 v10, v13, v14, vcc
	v_cndmask_b32_e32 v11, v12, v11, vcc
	v_xor_b32_e32 v12, v10, v3
	v_xor_b32_e32 v10, v11, v3
	v_sub_co_u32_e32 v10, vcc, v10, v3
	v_subb_co_u32_e32 v11, vcc, v12, v3, vcc
.LBB0_13:                               ;   in Loop: Header=BB0_7 Depth=2
	s_andn2_saveexec_b64 s[6:7], s[44:45]
	s_cbranch_execz .LBB0_15
; %bb.14:                               ;   in Loop: Header=BB0_7 Depth=2
	v_cvt_f32_u32_e32 v3, s40
	s_sub_i32 s44, 0, s40
	v_rcp_iflag_f32_e32 v3, v3
	v_mul_f32_e32 v3, 0x4f7ffffe, v3
	v_cvt_u32_f32_e32 v3, v3
	v_mul_lo_u32 v10, s44, v3
	v_mul_hi_u32 v10, v3, v10
	v_add_u32_e32 v3, v3, v10
	v_mul_hi_u32 v3, v8, v3
	v_mul_lo_u32 v10, v3, s40
	v_add_u32_e32 v11, 1, v3
	v_sub_u32_e32 v10, v8, v10
	v_subrev_u32_e32 v12, s40, v10
	v_cmp_le_u32_e32 vcc, s40, v10
	v_cndmask_b32_e32 v10, v10, v12, vcc
	v_cndmask_b32_e32 v3, v3, v11, vcc
	v_add_u32_e32 v11, 1, v3
	v_cmp_le_u32_e32 vcc, s40, v10
	v_cndmask_b32_e32 v10, v3, v11, vcc
	v_mov_b32_e32 v11, v2
.LBB0_15:                               ;   in Loop: Header=BB0_7 Depth=2
	s_or_b64 exec, exec, s[6:7]
	s_load_dwordx2 s[44:45], s[8:9], 0x10
	s_load_dwordx2 s[46:47], s[8:9], 0x88
                                        ; implicit-def: $vgpr14_vgpr15
	s_waitcnt lgkmcnt(0)
	v_or_b32_e32 v3, s45, v11
	v_cmp_ne_u64_e32 vcc, 0, v[2:3]
	s_and_saveexec_b64 s[6:7], vcc
	s_xor_b64 s[48:49], exec, s[6:7]
	s_cbranch_execz .LBB0_17
; %bb.16:                               ;   in Loop: Header=BB0_7 Depth=2
	s_ashr_i32 s50, s45, 31
	s_add_u32 s6, s44, s50
	s_mov_b32 s51, s50
	s_addc_u32 s7, s45, s50
	s_xor_b64 s[52:53], s[6:7], s[50:51]
	v_cvt_f32_u32_e32 v3, s52
	v_cvt_f32_u32_e32 v12, s53
	s_sub_u32 s51, 0, s52
	s_subb_u32 s54, 0, s53
	v_mac_f32_e32 v3, 0x4f800000, v12
	v_rcp_f32_e32 v3, v3
	v_mul_f32_e32 v3, 0x5f7ffffc, v3
	v_mul_f32_e32 v12, 0x2f800000, v3
	v_trunc_f32_e32 v12, v12
	v_mac_f32_e32 v3, 0xcf800000, v12
	v_cvt_u32_f32_e32 v12, v12
	v_cvt_u32_f32_e32 v3, v3
	v_readfirstlane_b32 s55, v12
	v_readfirstlane_b32 s6, v3
	s_mul_i32 s7, s51, s55
	s_mul_hi_u32 s57, s51, s6
	s_mul_i32 s56, s54, s6
	s_add_i32 s7, s57, s7
	s_add_i32 s7, s7, s56
	s_mul_i32 s63, s51, s6
	s_mul_i32 s57, s6, s7
	s_mul_hi_u32 s64, s6, s63
	s_mul_hi_u32 s56, s6, s7
	s_add_u32 s57, s64, s57
	s_addc_u32 s56, 0, s56
	s_mul_hi_u32 s65, s55, s63
	s_mul_i32 s63, s55, s63
	s_add_u32 s57, s57, s63
	s_mul_hi_u32 s64, s55, s7
	s_addc_u32 s56, s56, s65
	s_addc_u32 s57, s64, 0
	s_mul_i32 s7, s55, s7
	s_add_u32 s7, s56, s7
	s_addc_u32 s56, 0, s57
	s_add_u32 s57, s6, s7
	s_cselect_b64 s[6:7], -1, 0
	s_cmp_lg_u64 s[6:7], 0
	s_addc_u32 s55, s55, s56
	s_mul_i32 s6, s51, s55
	s_mul_hi_u32 s7, s51, s57
	s_add_i32 s6, s7, s6
	s_mul_i32 s54, s54, s57
	s_add_i32 s6, s6, s54
	s_mul_i32 s51, s51, s57
	s_mul_hi_u32 s54, s55, s51
	s_mul_i32 s56, s55, s51
	s_mul_i32 s64, s57, s6
	s_mul_hi_u32 s51, s57, s51
	s_mul_hi_u32 s63, s57, s6
	s_add_u32 s51, s51, s64
	s_addc_u32 s63, 0, s63
	s_add_u32 s51, s51, s56
	s_mul_hi_u32 s7, s55, s6
	s_addc_u32 s51, s63, s54
	s_addc_u32 s7, s7, 0
	s_mul_i32 s6, s55, s6
	s_add_u32 s6, s51, s6
	s_addc_u32 s51, 0, s7
	s_add_u32 s54, s57, s6
	s_cselect_b64 s[6:7], -1, 0
	v_ashrrev_i32_e32 v3, 31, v11
	s_cmp_lg_u64 s[6:7], 0
	v_add_co_u32_e32 v12, vcc, v10, v3
	s_addc_u32 s51, s55, s51
	v_xor_b32_e32 v16, v12, v3
	v_mad_u64_u32 v[12:13], s[6:7], v16, s51, 0
	v_mul_hi_u32 v15, v16, s54
	v_addc_co_u32_e32 v14, vcc, v11, v3, vcc
	v_xor_b32_e32 v17, v14, v3
	v_add_co_u32_e32 v18, vcc, v15, v12
	v_addc_co_u32_e32 v19, vcc, 0, v13, vcc
	v_mad_u64_u32 v[12:13], s[6:7], v17, s54, 0
	v_mad_u64_u32 v[14:15], s[6:7], v17, s51, 0
	v_add_co_u32_e32 v12, vcc, v18, v12
	v_addc_co_u32_e32 v12, vcc, v19, v13, vcc
	v_addc_co_u32_e32 v13, vcc, 0, v15, vcc
	v_add_co_u32_e32 v14, vcc, v12, v14
	v_addc_co_u32_e32 v15, vcc, 0, v13, vcc
	v_mul_lo_u32 v18, s53, v14
	v_mul_lo_u32 v19, s52, v15
	v_mad_u64_u32 v[12:13], s[6:7], s52, v14, 0
	v_xor_b32_e32 v3, s50, v3
	v_add3_u32 v13, v13, v19, v18
	v_sub_u32_e32 v18, v17, v13
	v_mov_b32_e32 v19, s53
	v_sub_co_u32_e32 v12, vcc, v16, v12
	v_subb_co_u32_e64 v16, s[6:7], v18, v19, vcc
	v_subrev_co_u32_e64 v18, s[6:7], s52, v12
	v_subbrev_co_u32_e64 v16, s[6:7], 0, v16, s[6:7]
	v_cmp_le_u32_e64 s[6:7], s53, v16
	v_cndmask_b32_e64 v19, 0, -1, s[6:7]
	v_cmp_le_u32_e64 s[6:7], s52, v18
	v_cndmask_b32_e64 v18, 0, -1, s[6:7]
	v_cmp_eq_u32_e64 s[6:7], s53, v16
	v_cndmask_b32_e64 v16, v19, v18, s[6:7]
	v_add_co_u32_e64 v18, s[6:7], 2, v14
	v_subb_co_u32_e32 v13, vcc, v17, v13, vcc
	v_addc_co_u32_e64 v19, s[6:7], 0, v15, s[6:7]
	v_cmp_le_u32_e32 vcc, s53, v13
	v_add_co_u32_e64 v20, s[6:7], 1, v14
	v_cndmask_b32_e64 v17, 0, -1, vcc
	v_cmp_le_u32_e32 vcc, s52, v12
	v_addc_co_u32_e64 v21, s[6:7], 0, v15, s[6:7]
	v_cndmask_b32_e64 v12, 0, -1, vcc
	v_cmp_eq_u32_e32 vcc, s53, v13
	v_cmp_ne_u32_e64 s[6:7], 0, v16
	v_cndmask_b32_e32 v12, v17, v12, vcc
	v_cmp_ne_u32_e32 vcc, 0, v12
	v_cndmask_b32_e64 v13, v20, v18, s[6:7]
	v_cndmask_b32_e64 v16, v21, v19, s[6:7]
	v_cndmask_b32_e32 v13, v14, v13, vcc
	v_cndmask_b32_e32 v12, v15, v16, vcc
	v_xor_b32_e32 v13, v13, v3
	v_xor_b32_e32 v12, v12, v3
	v_sub_co_u32_e32 v14, vcc, v13, v3
	v_subb_co_u32_e32 v15, vcc, v12, v3, vcc
.LBB0_17:                               ;   in Loop: Header=BB0_7 Depth=2
	s_andn2_saveexec_b64 s[6:7], s[48:49]
	s_cbranch_execz .LBB0_19
; %bb.18:                               ;   in Loop: Header=BB0_7 Depth=2
	v_cvt_f32_u32_e32 v3, s44
	s_sub_i32 s48, 0, s44
	v_mov_b32_e32 v15, v2
	v_rcp_iflag_f32_e32 v3, v3
	v_mul_f32_e32 v3, 0x4f7ffffe, v3
	v_cvt_u32_f32_e32 v3, v3
	v_mul_lo_u32 v12, s48, v3
	v_mul_hi_u32 v12, v3, v12
	v_add_u32_e32 v3, v3, v12
	v_mul_hi_u32 v3, v10, v3
	v_mul_lo_u32 v12, v3, s44
	v_add_u32_e32 v13, 1, v3
	v_sub_u32_e32 v12, v10, v12
	v_subrev_u32_e32 v14, s44, v12
	v_cmp_le_u32_e32 vcc, s44, v12
	v_cndmask_b32_e32 v12, v12, v14, vcc
	v_cndmask_b32_e32 v3, v3, v13, vcc
	v_add_u32_e32 v13, 1, v3
	v_cmp_le_u32_e32 vcc, s44, v12
	v_cndmask_b32_e32 v14, v3, v13, vcc
.LBB0_19:                               ;   in Loop: Header=BB0_7 Depth=2
	s_or_b64 exec, exec, s[6:7]
	s_load_dwordx2 s[48:49], s[8:9], 0x18
	s_load_dwordx2 s[50:51], s[8:9], 0x90
                                        ; implicit-def: $vgpr12_vgpr13
	s_waitcnt lgkmcnt(0)
	v_or_b32_e32 v3, s49, v15
	v_cmp_ne_u64_e32 vcc, 0, v[2:3]
	s_and_saveexec_b64 s[6:7], vcc
	s_xor_b64 s[52:53], exec, s[6:7]
	s_cbranch_execz .LBB0_21
; %bb.20:                               ;   in Loop: Header=BB0_7 Depth=2
	s_ashr_i32 s54, s49, 31
	s_add_u32 s6, s48, s54
	s_mov_b32 s55, s54
	s_addc_u32 s7, s49, s54
	s_xor_b64 s[56:57], s[6:7], s[54:55]
	v_cvt_f32_u32_e32 v3, s56
	v_cvt_f32_u32_e32 v12, s57
	s_sub_u32 s55, 0, s56
	s_subb_u32 s63, 0, s57
	v_mac_f32_e32 v3, 0x4f800000, v12
	v_rcp_f32_e32 v3, v3
	v_mul_f32_e32 v3, 0x5f7ffffc, v3
	v_mul_f32_e32 v12, 0x2f800000, v3
	v_trunc_f32_e32 v12, v12
	v_mac_f32_e32 v3, 0xcf800000, v12
	v_cvt_u32_f32_e32 v12, v12
	v_cvt_u32_f32_e32 v3, v3
	v_readfirstlane_b32 s64, v12
	v_readfirstlane_b32 s6, v3
	s_mul_i32 s7, s55, s64
	s_mul_hi_u32 s66, s55, s6
	s_mul_i32 s65, s63, s6
	s_add_i32 s7, s66, s7
	s_add_i32 s7, s7, s65
	s_mul_i32 s67, s55, s6
	s_mul_i32 s66, s6, s7
	s_mul_hi_u32 s68, s6, s67
	s_mul_hi_u32 s65, s6, s7
	s_add_u32 s66, s68, s66
	s_addc_u32 s65, 0, s65
	s_mul_hi_u32 s69, s64, s67
	s_mul_i32 s67, s64, s67
	s_add_u32 s66, s66, s67
	s_mul_hi_u32 s68, s64, s7
	s_addc_u32 s65, s65, s69
	s_addc_u32 s66, s68, 0
	s_mul_i32 s7, s64, s7
	s_add_u32 s7, s65, s7
	s_addc_u32 s65, 0, s66
	s_add_u32 s66, s6, s7
	s_cselect_b64 s[6:7], -1, 0
	s_cmp_lg_u64 s[6:7], 0
	s_addc_u32 s64, s64, s65
	s_mul_i32 s6, s55, s64
	s_mul_hi_u32 s7, s55, s66
	s_add_i32 s6, s7, s6
	s_mul_i32 s63, s63, s66
	s_add_i32 s6, s6, s63
	s_mul_i32 s55, s55, s66
	s_mul_hi_u32 s63, s64, s55
	s_mul_i32 s65, s64, s55
	s_mul_i32 s68, s66, s6
	s_mul_hi_u32 s55, s66, s55
	s_mul_hi_u32 s67, s66, s6
	s_add_u32 s55, s55, s68
	s_addc_u32 s67, 0, s67
	s_add_u32 s55, s55, s65
	s_mul_hi_u32 s7, s64, s6
	s_addc_u32 s55, s67, s63
	s_addc_u32 s7, s7, 0
	s_mul_i32 s6, s64, s6
	s_add_u32 s6, s55, s6
	s_addc_u32 s55, 0, s7
	s_add_u32 s63, s66, s6
	s_cselect_b64 s[6:7], -1, 0
	v_ashrrev_i32_e32 v3, 31, v15
	s_cmp_lg_u64 s[6:7], 0
	v_add_co_u32_e32 v12, vcc, v14, v3
	s_addc_u32 s55, s64, s55
	v_xor_b32_e32 v18, v12, v3
	v_mad_u64_u32 v[12:13], s[6:7], v18, s55, 0
	v_mul_hi_u32 v17, v18, s63
	v_addc_co_u32_e32 v16, vcc, v15, v3, vcc
	v_xor_b32_e32 v19, v16, v3
	v_add_co_u32_e32 v20, vcc, v17, v12
	v_addc_co_u32_e32 v21, vcc, 0, v13, vcc
	v_mad_u64_u32 v[12:13], s[6:7], v19, s63, 0
	v_mad_u64_u32 v[16:17], s[6:7], v19, s55, 0
	v_add_co_u32_e32 v12, vcc, v20, v12
	v_addc_co_u32_e32 v12, vcc, v21, v13, vcc
	v_addc_co_u32_e32 v13, vcc, 0, v17, vcc
	v_add_co_u32_e32 v16, vcc, v12, v16
	v_addc_co_u32_e32 v17, vcc, 0, v13, vcc
	v_mul_lo_u32 v20, s57, v16
	v_mul_lo_u32 v21, s56, v17
	v_mad_u64_u32 v[12:13], s[6:7], s56, v16, 0
	v_xor_b32_e32 v3, s54, v3
	v_add3_u32 v13, v13, v21, v20
	v_sub_u32_e32 v20, v19, v13
	v_mov_b32_e32 v21, s57
	v_sub_co_u32_e32 v12, vcc, v18, v12
	v_subb_co_u32_e64 v18, s[6:7], v20, v21, vcc
	v_subrev_co_u32_e64 v20, s[6:7], s56, v12
	v_subbrev_co_u32_e64 v18, s[6:7], 0, v18, s[6:7]
	v_cmp_le_u32_e64 s[6:7], s57, v18
	v_cndmask_b32_e64 v21, 0, -1, s[6:7]
	v_cmp_le_u32_e64 s[6:7], s56, v20
	v_cndmask_b32_e64 v20, 0, -1, s[6:7]
	v_cmp_eq_u32_e64 s[6:7], s57, v18
	v_cndmask_b32_e64 v18, v21, v20, s[6:7]
	v_add_co_u32_e64 v20, s[6:7], 2, v16
	v_subb_co_u32_e32 v13, vcc, v19, v13, vcc
	v_addc_co_u32_e64 v21, s[6:7], 0, v17, s[6:7]
	v_cmp_le_u32_e32 vcc, s57, v13
	v_add_co_u32_e64 v22, s[6:7], 1, v16
	v_cndmask_b32_e64 v19, 0, -1, vcc
	v_cmp_le_u32_e32 vcc, s56, v12
	v_addc_co_u32_e64 v23, s[6:7], 0, v17, s[6:7]
	v_cndmask_b32_e64 v12, 0, -1, vcc
	v_cmp_eq_u32_e32 vcc, s57, v13
	v_cmp_ne_u32_e64 s[6:7], 0, v18
	v_cndmask_b32_e32 v12, v19, v12, vcc
	v_cndmask_b32_e64 v18, v23, v21, s[6:7]
	v_cmp_ne_u32_e32 vcc, 0, v12
	v_cndmask_b32_e64 v13, v22, v20, s[6:7]
	v_cndmask_b32_e32 v12, v17, v18, vcc
	v_cndmask_b32_e32 v13, v16, v13, vcc
	v_xor_b32_e32 v16, v12, v3
	v_xor_b32_e32 v12, v13, v3
	v_sub_co_u32_e32 v12, vcc, v12, v3
	v_subb_co_u32_e32 v13, vcc, v16, v3, vcc
.LBB0_21:                               ;   in Loop: Header=BB0_7 Depth=2
	s_andn2_saveexec_b64 s[6:7], s[52:53]
	s_cbranch_execz .LBB0_23
; %bb.22:                               ;   in Loop: Header=BB0_7 Depth=2
	v_cvt_f32_u32_e32 v3, s48
	s_sub_i32 s52, 0, s48
	v_rcp_iflag_f32_e32 v3, v3
	v_mul_f32_e32 v3, 0x4f7ffffe, v3
	v_cvt_u32_f32_e32 v3, v3
	v_mul_lo_u32 v12, s52, v3
	v_mul_hi_u32 v12, v3, v12
	v_add_u32_e32 v3, v3, v12
	v_mul_hi_u32 v3, v14, v3
	v_mul_lo_u32 v12, v3, s48
	v_add_u32_e32 v13, 1, v3
	v_sub_u32_e32 v12, v14, v12
	v_subrev_u32_e32 v16, s48, v12
	v_cmp_le_u32_e32 vcc, s48, v12
	v_cndmask_b32_e32 v12, v12, v16, vcc
	v_cndmask_b32_e32 v3, v3, v13, vcc
	v_add_u32_e32 v13, 1, v3
	v_cmp_le_u32_e32 vcc, s48, v12
	v_cndmask_b32_e32 v12, v3, v13, vcc
	v_mov_b32_e32 v13, v2
.LBB0_23:                               ;   in Loop: Header=BB0_7 Depth=2
	s_or_b64 exec, exec, s[6:7]
	v_mul_lo_u32 v3, v9, s38
	v_mul_lo_u32 v18, v8, s39
	v_mad_u64_u32 v[16:17], s[6:7], v8, s38, 0
	s_add_i32 s62, s62, 4
	v_add3_u32 v3, v17, v18, v3
	v_sub_co_u32_e32 v6, vcc, v6, v16
	v_subb_co_u32_e32 v3, vcc, v7, v3, vcc
	v_mul_lo_u32 v7, s42, v3
	v_mul_lo_u32 v16, s43, v6
	v_mad_u64_u32 v[3:4], s[6:7], s42, v6, v[4:5]
	v_mul_lo_u32 v17, v11, s40
	v_mul_lo_u32 v18, v10, s41
	v_mad_u64_u32 v[5:6], s[6:7], v10, s40, 0
	v_add3_u32 v4, v16, v4, v7
	v_mul_lo_u32 v16, v14, s45
	v_add3_u32 v6, v6, v18, v17
	v_sub_co_u32_e32 v5, vcc, v8, v5
	v_subb_co_u32_e32 v6, vcc, v9, v6, vcc
	v_mad_u64_u32 v[3:4], s[6:7], s46, v5, v[3:4]
	v_mul_lo_u32 v7, s46, v6
	v_mul_lo_u32 v8, s47, v5
	;; [unrolled: 1-line block ×3, first 2 shown]
	v_mad_u64_u32 v[5:6], s[6:7], v14, s44, 0
	v_add3_u32 v4, v8, v4, v7
	v_add3_u32 v6, v6, v16, v9
	v_sub_co_u32_e32 v5, vcc, v10, v5
	v_subb_co_u32_e32 v6, vcc, v11, v6, vcc
	v_mad_u64_u32 v[3:4], s[6:7], s50, v5, v[3:4]
	v_mul_lo_u32 v7, s50, v6
	v_mul_lo_u32 v8, s51, v5
	;; [unrolled: 1-line block ×4, first 2 shown]
	v_mad_u64_u32 v[5:6], s[6:7], v12, s48, 0
	s_load_dwordx2 s[6:7], s[8:9], 0x98
	v_add3_u32 v4, v8, v4, v7
	v_add3_u32 v6, v6, v10, v9
	v_sub_co_u32_e32 v7, vcc, v14, v5
	v_subb_co_u32_e32 v6, vcc, v15, v6, vcc
	s_waitcnt lgkmcnt(0)
	v_mad_u64_u32 v[4:5], s[38:39], s6, v7, v[3:4]
	v_mul_lo_u32 v3, s6, v6
	v_mul_lo_u32 v6, s7, v7
	s_add_u32 s8, s8, 32
	s_addc_u32 s9, s9, 0
	s_cmp_lg_u32 s61, s62
	v_add3_u32 v5, v6, v5, v3
	s_cbranch_scc0 .LBB0_25
; %bb.24:                               ;   in Loop: Header=BB0_7 Depth=2
	v_mov_b32_e32 v6, v12
	v_mov_b32_e32 v7, v13
	s_branch .LBB0_7
.LBB0_25:                               ;   in Loop: Header=BB0_4 Depth=1
	s_mov_b32 s62, s61
.LBB0_26:                               ;   in Loop: Header=BB0_4 Depth=1
	s_andn2_b64 vcc, exec, s[30:31]
	s_cbranch_vccnz .LBB0_33
; %bb.27:                               ;   in Loop: Header=BB0_4 Depth=1
	s_lshl_b32 s6, s62, 3
	s_add_u32 s8, s24, s6
	s_addc_u32 s9, s25, 0
	s_mov_b32 s46, s60
	s_branch .LBB0_29
.LBB0_28:                               ;   in Loop: Header=BB0_29 Depth=2
	s_or_b64 exec, exec, s[6:7]
	v_mul_lo_u32 v3, v7, s38
	v_mul_lo_u32 v10, v6, s39
	v_mad_u64_u32 v[8:9], s[6:7], v6, s38, 0
	s_load_dwordx2 s[6:7], s[8:9], 0x80
	s_add_u32 s8, s8, 8
	v_add3_u32 v3, v9, v10, v3
	v_sub_co_u32_e32 v8, vcc, v12, v8
	v_subb_co_u32_e32 v3, vcc, v13, v3, vcc
	s_waitcnt lgkmcnt(0)
	v_mul_lo_u32 v3, s6, v3
	v_mul_lo_u32 v9, s7, v8
	v_mad_u64_u32 v[4:5], s[6:7], s6, v8, v[4:5]
	s_addc_u32 s9, s9, 0
	s_add_i32 s46, s46, -1
	v_mov_b32_e32 v13, v7
	v_add3_u32 v5, v9, v5, v3
	s_cmp_lg_u32 s46, 0
	v_mov_b32_e32 v12, v6
	s_cbranch_scc0 .LBB0_33
.LBB0_29:                               ;   Parent Loop BB0_4 Depth=1
                                        ; =>  This Inner Loop Header: Depth=2
	s_load_dwordx2 s[38:39], s[8:9], 0x0
                                        ; implicit-def: $vgpr6_vgpr7
	s_waitcnt lgkmcnt(0)
	v_or_b32_e32 v3, s39, v13
	v_cmp_ne_u64_e32 vcc, 0, v[2:3]
	s_and_saveexec_b64 s[6:7], vcc
	s_xor_b64 s[40:41], exec, s[6:7]
	s_cbranch_execz .LBB0_31
; %bb.30:                               ;   in Loop: Header=BB0_29 Depth=2
	s_ashr_i32 s42, s39, 31
	s_add_u32 s6, s38, s42
	s_mov_b32 s43, s42
	s_addc_u32 s7, s39, s42
	s_xor_b64 s[44:45], s[6:7], s[42:43]
	v_cvt_f32_u32_e32 v3, s44
	v_cvt_f32_u32_e32 v6, s45
	s_sub_u32 s43, 0, s44
	s_subb_u32 s47, 0, s45
	v_mac_f32_e32 v3, 0x4f800000, v6
	v_rcp_f32_e32 v3, v3
	v_mul_f32_e32 v3, 0x5f7ffffc, v3
	v_mul_f32_e32 v6, 0x2f800000, v3
	v_trunc_f32_e32 v6, v6
	v_mac_f32_e32 v3, 0xcf800000, v6
	v_cvt_u32_f32_e32 v6, v6
	v_cvt_u32_f32_e32 v3, v3
	v_readfirstlane_b32 s48, v6
	v_readfirstlane_b32 s6, v3
	s_mul_i32 s7, s43, s48
	s_mul_hi_u32 s50, s43, s6
	s_mul_i32 s49, s47, s6
	s_add_i32 s7, s50, s7
	s_add_i32 s7, s7, s49
	s_mul_i32 s51, s43, s6
	s_mul_i32 s50, s6, s7
	s_mul_hi_u32 s52, s6, s51
	s_mul_hi_u32 s49, s6, s7
	s_add_u32 s50, s52, s50
	s_addc_u32 s49, 0, s49
	s_mul_hi_u32 s53, s48, s51
	s_mul_i32 s51, s48, s51
	s_add_u32 s50, s50, s51
	s_mul_hi_u32 s52, s48, s7
	s_addc_u32 s49, s49, s53
	s_addc_u32 s50, s52, 0
	s_mul_i32 s7, s48, s7
	s_add_u32 s7, s49, s7
	s_addc_u32 s49, 0, s50
	s_add_u32 s50, s6, s7
	s_cselect_b64 s[6:7], -1, 0
	s_cmp_lg_u64 s[6:7], 0
	s_addc_u32 s48, s48, s49
	s_mul_i32 s6, s43, s48
	s_mul_hi_u32 s7, s43, s50
	s_add_i32 s6, s7, s6
	s_mul_i32 s47, s47, s50
	s_add_i32 s6, s6, s47
	s_mul_i32 s43, s43, s50
	s_mul_hi_u32 s47, s48, s43
	s_mul_i32 s49, s48, s43
	s_mul_i32 s52, s50, s6
	s_mul_hi_u32 s43, s50, s43
	s_mul_hi_u32 s51, s50, s6
	s_add_u32 s43, s43, s52
	s_addc_u32 s51, 0, s51
	s_add_u32 s43, s43, s49
	s_mul_hi_u32 s7, s48, s6
	s_addc_u32 s43, s51, s47
	s_addc_u32 s7, s7, 0
	s_mul_i32 s6, s48, s6
	s_add_u32 s6, s43, s6
	s_addc_u32 s43, 0, s7
	s_add_u32 s47, s50, s6
	s_cselect_b64 s[6:7], -1, 0
	v_ashrrev_i32_e32 v3, 31, v13
	s_cmp_lg_u64 s[6:7], 0
	v_add_co_u32_e32 v6, vcc, v12, v3
	s_addc_u32 s43, s48, s43
	v_xor_b32_e32 v10, v6, v3
	v_mad_u64_u32 v[6:7], s[6:7], v10, s43, 0
	v_mul_hi_u32 v9, v10, s47
	v_addc_co_u32_e32 v8, vcc, v13, v3, vcc
	v_xor_b32_e32 v11, v8, v3
	v_add_co_u32_e32 v14, vcc, v9, v6
	v_addc_co_u32_e32 v15, vcc, 0, v7, vcc
	v_mad_u64_u32 v[6:7], s[6:7], v11, s47, 0
	v_mad_u64_u32 v[8:9], s[6:7], v11, s43, 0
	v_add_co_u32_e32 v6, vcc, v14, v6
	v_addc_co_u32_e32 v6, vcc, v15, v7, vcc
	v_addc_co_u32_e32 v7, vcc, 0, v9, vcc
	v_add_co_u32_e32 v8, vcc, v6, v8
	v_addc_co_u32_e32 v9, vcc, 0, v7, vcc
	v_mul_lo_u32 v14, s45, v8
	v_mul_lo_u32 v15, s44, v9
	v_mad_u64_u32 v[6:7], s[6:7], s44, v8, 0
	v_xor_b32_e32 v3, s42, v3
	v_add3_u32 v7, v7, v15, v14
	v_sub_u32_e32 v14, v11, v7
	v_mov_b32_e32 v15, s45
	v_sub_co_u32_e32 v6, vcc, v10, v6
	v_subb_co_u32_e64 v10, s[6:7], v14, v15, vcc
	v_subrev_co_u32_e64 v14, s[6:7], s44, v6
	v_subbrev_co_u32_e64 v10, s[6:7], 0, v10, s[6:7]
	v_cmp_le_u32_e64 s[6:7], s45, v10
	v_cndmask_b32_e64 v15, 0, -1, s[6:7]
	v_cmp_le_u32_e64 s[6:7], s44, v14
	v_cndmask_b32_e64 v14, 0, -1, s[6:7]
	v_cmp_eq_u32_e64 s[6:7], s45, v10
	v_cndmask_b32_e64 v10, v15, v14, s[6:7]
	v_add_co_u32_e64 v14, s[6:7], 2, v8
	v_subb_co_u32_e32 v7, vcc, v11, v7, vcc
	v_addc_co_u32_e64 v15, s[6:7], 0, v9, s[6:7]
	v_cmp_le_u32_e32 vcc, s45, v7
	v_add_co_u32_e64 v16, s[6:7], 1, v8
	v_cndmask_b32_e64 v11, 0, -1, vcc
	v_cmp_le_u32_e32 vcc, s44, v6
	v_addc_co_u32_e64 v17, s[6:7], 0, v9, s[6:7]
	v_cndmask_b32_e64 v6, 0, -1, vcc
	v_cmp_eq_u32_e32 vcc, s45, v7
	v_cmp_ne_u32_e64 s[6:7], 0, v10
	v_cndmask_b32_e32 v6, v11, v6, vcc
	v_cndmask_b32_e64 v10, v17, v15, s[6:7]
	v_cmp_ne_u32_e32 vcc, 0, v6
	v_cndmask_b32_e64 v7, v16, v14, s[6:7]
	v_cndmask_b32_e32 v6, v9, v10, vcc
	v_cndmask_b32_e32 v7, v8, v7, vcc
	v_xor_b32_e32 v8, v6, v3
	v_xor_b32_e32 v6, v7, v3
	v_sub_co_u32_e32 v6, vcc, v6, v3
	v_subb_co_u32_e32 v7, vcc, v8, v3, vcc
.LBB0_31:                               ;   in Loop: Header=BB0_29 Depth=2
	s_andn2_saveexec_b64 s[6:7], s[40:41]
	s_cbranch_execz .LBB0_28
; %bb.32:                               ;   in Loop: Header=BB0_29 Depth=2
	v_cvt_f32_u32_e32 v3, s38
	s_sub_i32 s40, 0, s38
	v_rcp_iflag_f32_e32 v3, v3
	v_mul_f32_e32 v3, 0x4f7ffffe, v3
	v_cvt_u32_f32_e32 v3, v3
	v_mul_lo_u32 v6, s40, v3
	v_mul_hi_u32 v6, v3, v6
	v_add_u32_e32 v3, v3, v6
	v_mul_hi_u32 v3, v12, v3
	v_mul_lo_u32 v6, v3, s38
	v_add_u32_e32 v7, 1, v3
	v_sub_u32_e32 v6, v12, v6
	v_subrev_u32_e32 v8, s38, v6
	v_cmp_le_u32_e32 vcc, s38, v6
	v_cndmask_b32_e32 v6, v6, v8, vcc
	v_cndmask_b32_e32 v3, v3, v7, vcc
	v_add_u32_e32 v7, 1, v3
	v_cmp_le_u32_e32 vcc, s38, v6
	v_cndmask_b32_e32 v6, v3, v7, vcc
	v_mov_b32_e32 v7, v2
	s_branch .LBB0_28
.LBB0_33:                               ;   in Loop: Header=BB0_4 Depth=1
	s_mov_b64 s[6:7], 0
.LBB0_34:                               ;   in Loop: Header=BB0_4 Depth=1
	s_andn2_b64 vcc, exec, s[6:7]
	s_cbranch_vccnz .LBB0_45
; %bb.35:                               ;   in Loop: Header=BB0_4 Depth=1
	v_or_b32_e32 v3, s17, v1
	v_cmp_ne_u64_e32 vcc, 0, v[2:3]
                                        ; implicit-def: $vgpr6_vgpr7
	s_and_saveexec_b64 s[6:7], vcc
	s_xor_b64 s[8:9], exec, s[6:7]
	s_cbranch_execz .LBB0_37
; %bb.36:                               ;   in Loop: Header=BB0_4 Depth=1
	s_ashr_i32 s38, s17, 31
	s_add_u32 s6, s16, s38
	s_mov_b32 s39, s38
	s_addc_u32 s7, s17, s38
	s_xor_b64 s[40:41], s[6:7], s[38:39]
	v_cvt_f32_u32_e32 v3, s40
	v_cvt_f32_u32_e32 v4, s41
	s_sub_u32 s39, 0, s40
	s_subb_u32 s42, 0, s41
	v_ashrrev_i32_e32 v7, 31, v1
	v_mac_f32_e32 v3, 0x4f800000, v4
	v_rcp_f32_e32 v3, v3
	v_mul_f32_e32 v3, 0x5f7ffffc, v3
	v_mul_f32_e32 v4, 0x2f800000, v3
	v_trunc_f32_e32 v4, v4
	v_mac_f32_e32 v3, 0xcf800000, v4
	v_cvt_u32_f32_e32 v4, v4
	v_cvt_u32_f32_e32 v3, v3
	v_readfirstlane_b32 s43, v4
	v_readfirstlane_b32 s6, v3
	s_mul_i32 s7, s39, s43
	s_mul_hi_u32 s45, s39, s6
	s_mul_i32 s44, s42, s6
	s_add_i32 s7, s45, s7
	s_add_i32 s7, s7, s44
	s_mul_i32 s46, s39, s6
	s_mul_i32 s45, s6, s7
	s_mul_hi_u32 s47, s6, s46
	s_mul_hi_u32 s44, s6, s7
	s_add_u32 s45, s47, s45
	s_addc_u32 s44, 0, s44
	s_mul_hi_u32 s48, s43, s46
	s_mul_i32 s46, s43, s46
	s_add_u32 s45, s45, s46
	s_mul_hi_u32 s47, s43, s7
	s_addc_u32 s44, s44, s48
	s_addc_u32 s45, s47, 0
	s_mul_i32 s7, s43, s7
	s_add_u32 s7, s44, s7
	s_addc_u32 s44, 0, s45
	s_add_u32 s45, s6, s7
	s_cselect_b64 s[6:7], -1, 0
	s_cmp_lg_u64 s[6:7], 0
	s_addc_u32 s43, s43, s44
	s_mul_i32 s6, s39, s43
	s_mul_hi_u32 s7, s39, s45
	s_add_i32 s6, s7, s6
	s_mul_i32 s42, s42, s45
	s_add_i32 s6, s6, s42
	s_mul_i32 s39, s39, s45
	s_mul_hi_u32 s42, s43, s39
	s_mul_i32 s44, s43, s39
	s_mul_i32 s47, s45, s6
	s_mul_hi_u32 s39, s45, s39
	s_mul_hi_u32 s46, s45, s6
	s_add_u32 s39, s39, s47
	s_addc_u32 s46, 0, s46
	s_add_u32 s39, s39, s44
	s_mul_hi_u32 s7, s43, s6
	s_addc_u32 s39, s46, s42
	s_addc_u32 s7, s7, 0
	s_mul_i32 s6, s43, s6
	s_add_u32 s6, s39, s6
	s_addc_u32 s39, 0, s7
	s_add_u32 s42, s45, s6
	s_cselect_b64 s[6:7], -1, 0
	s_cmp_lg_u64 s[6:7], 0
	v_add_co_u32_e32 v3, vcc, v0, v7
	s_addc_u32 s39, s43, s39
	v_xor_b32_e32 v8, v3, v7
	v_mad_u64_u32 v[3:4], s[6:7], v8, s39, 0
	v_mul_hi_u32 v6, v8, s42
	v_addc_co_u32_e32 v5, vcc, v1, v7, vcc
	v_xor_b32_e32 v9, v5, v7
	v_add_co_u32_e32 v10, vcc, v6, v3
	v_addc_co_u32_e32 v11, vcc, 0, v4, vcc
	v_mad_u64_u32 v[3:4], s[6:7], v9, s42, 0
	v_mad_u64_u32 v[5:6], s[6:7], v9, s39, 0
	v_add_co_u32_e32 v3, vcc, v10, v3
	v_addc_co_u32_e32 v3, vcc, v11, v4, vcc
	v_addc_co_u32_e32 v4, vcc, 0, v6, vcc
	v_add_co_u32_e32 v5, vcc, v3, v5
	v_addc_co_u32_e32 v6, vcc, 0, v4, vcc
	v_mul_lo_u32 v10, s41, v5
	v_mul_lo_u32 v11, s40, v6
	v_mad_u64_u32 v[3:4], s[6:7], s40, v5, 0
	v_add3_u32 v4, v4, v11, v10
	v_sub_u32_e32 v10, v9, v4
	v_mov_b32_e32 v11, s41
	v_sub_co_u32_e32 v3, vcc, v8, v3
	v_subb_co_u32_e64 v8, s[6:7], v10, v11, vcc
	v_subrev_co_u32_e64 v10, s[6:7], s40, v3
	v_subbrev_co_u32_e64 v8, s[6:7], 0, v8, s[6:7]
	v_cmp_le_u32_e64 s[6:7], s41, v8
	v_cndmask_b32_e64 v11, 0, -1, s[6:7]
	v_cmp_le_u32_e64 s[6:7], s40, v10
	v_cndmask_b32_e64 v10, 0, -1, s[6:7]
	v_cmp_eq_u32_e64 s[6:7], s41, v8
	v_cndmask_b32_e64 v8, v11, v10, s[6:7]
	v_add_co_u32_e64 v10, s[6:7], 2, v5
	v_subb_co_u32_e32 v4, vcc, v9, v4, vcc
	v_addc_co_u32_e64 v11, s[6:7], 0, v6, s[6:7]
	v_cmp_le_u32_e32 vcc, s41, v4
	v_add_co_u32_e64 v12, s[6:7], 1, v5
	v_cndmask_b32_e64 v9, 0, -1, vcc
	v_cmp_le_u32_e32 vcc, s40, v3
	v_addc_co_u32_e64 v13, s[6:7], 0, v6, s[6:7]
	v_cndmask_b32_e64 v3, 0, -1, vcc
	v_cmp_eq_u32_e32 vcc, s41, v4
	v_cmp_ne_u32_e64 s[6:7], 0, v8
	v_cndmask_b32_e32 v3, v9, v3, vcc
	v_cmp_ne_u32_e32 vcc, 0, v3
	v_cndmask_b32_e64 v4, v12, v10, s[6:7]
	v_cndmask_b32_e64 v8, v13, v11, s[6:7]
	v_cndmask_b32_e32 v4, v5, v4, vcc
	v_xor_b32_e32 v5, s38, v7
	v_cndmask_b32_e32 v3, v6, v8, vcc
	v_xor_b32_e32 v4, v4, v5
	v_xor_b32_e32 v3, v3, v5
	v_sub_co_u32_e32 v6, vcc, v4, v5
	v_subb_co_u32_e32 v7, vcc, v3, v5, vcc
.LBB0_37:                               ;   in Loop: Header=BB0_4 Depth=1
	s_andn2_saveexec_b64 s[6:7], s[8:9]
	s_cbranch_execz .LBB0_39
; %bb.38:                               ;   in Loop: Header=BB0_4 Depth=1
	v_cvt_f32_u32_e32 v3, s16
	s_sub_i32 s8, 0, s16
	v_mov_b32_e32 v7, v2
	v_rcp_iflag_f32_e32 v3, v3
	v_mul_f32_e32 v3, 0x4f7ffffe, v3
	v_cvt_u32_f32_e32 v3, v3
	v_mul_lo_u32 v4, s8, v3
	v_mul_hi_u32 v4, v3, v4
	v_add_u32_e32 v3, v3, v4
	v_mul_hi_u32 v3, v0, v3
	v_mul_lo_u32 v4, v3, s16
	v_add_u32_e32 v5, 1, v3
	v_sub_u32_e32 v4, v0, v4
	v_subrev_u32_e32 v6, s16, v4
	v_cmp_le_u32_e32 vcc, s16, v4
	v_cndmask_b32_e32 v4, v4, v6, vcc
	v_cndmask_b32_e32 v3, v3, v5, vcc
	v_add_u32_e32 v5, 1, v3
	v_cmp_le_u32_e32 vcc, s16, v4
	v_cndmask_b32_e32 v6, v3, v5, vcc
.LBB0_39:                               ;   in Loop: Header=BB0_4 Depth=1
	s_or_b64 exec, exec, s[6:7]
	v_mul_lo_u32 v5, v7, s16
	v_mul_lo_u32 v8, v6, s17
	v_mad_u64_u32 v[3:4], s[6:7], v6, s16, 0
	v_add3_u32 v4, v4, v8, v5
	v_sub_co_u32_e32 v3, vcc, v0, v3
	v_subb_co_u32_e32 v4, vcc, v1, v4, vcc
	v_mul_lo_u32 v8, s21, v3
	v_mul_lo_u32 v9, s20, v4
	v_mad_u64_u32 v[4:5], s[6:7], s20, v3, 0
	s_andn2_b64 vcc, exec, s[26:27]
	v_add3_u32 v5, v5, v9, v8
	s_cbranch_vccnz .LBB0_45
; %bb.40:                               ;   in Loop: Header=BB0_4 Depth=1
	v_or_b32_e32 v3, s19, v7
	v_cmp_ne_u64_e32 vcc, 0, v[2:3]
                                        ; implicit-def: $vgpr8_vgpr9
	s_and_saveexec_b64 s[6:7], vcc
	s_xor_b64 s[38:39], exec, s[6:7]
	s_cbranch_execz .LBB0_42
; %bb.41:                               ;   in Loop: Header=BB0_4 Depth=1
	s_ashr_i32 s6, s19, 31
	s_add_u32 s8, s18, s6
	s_mov_b32 s7, s6
	s_addc_u32 s9, s19, s6
	s_xor_b64 s[40:41], s[8:9], s[6:7]
	v_cvt_f32_u32_e32 v3, s40
	v_cvt_f32_u32_e32 v8, s41
	s_sub_u32 s8, 0, s40
	s_subb_u32 s9, 0, s41
	v_mac_f32_e32 v3, 0x4f800000, v8
	v_rcp_f32_e32 v3, v3
	v_mul_f32_e32 v3, 0x5f7ffffc, v3
	v_mul_f32_e32 v8, 0x2f800000, v3
	v_trunc_f32_e32 v8, v8
	v_mac_f32_e32 v3, 0xcf800000, v8
	v_cvt_u32_f32_e32 v8, v8
	v_cvt_u32_f32_e32 v3, v3
	v_readfirstlane_b32 s42, v8
	v_readfirstlane_b32 s6, v3
	s_mul_i32 s7, s8, s42
	s_mul_hi_u32 s44, s8, s6
	s_mul_i32 s43, s9, s6
	s_add_i32 s7, s44, s7
	s_add_i32 s7, s7, s43
	s_mul_i32 s45, s8, s6
	s_mul_i32 s44, s6, s7
	s_mul_hi_u32 s46, s6, s45
	s_mul_hi_u32 s43, s6, s7
	s_add_u32 s44, s46, s44
	s_addc_u32 s43, 0, s43
	s_mul_hi_u32 s47, s42, s45
	s_mul_i32 s45, s42, s45
	s_add_u32 s44, s44, s45
	s_mul_hi_u32 s46, s42, s7
	s_addc_u32 s43, s43, s47
	s_addc_u32 s44, s46, 0
	s_mul_i32 s7, s42, s7
	s_add_u32 s7, s43, s7
	s_addc_u32 s43, 0, s44
	s_add_u32 s44, s6, s7
	s_cselect_b64 s[6:7], -1, 0
	s_cmp_lg_u64 s[6:7], 0
	s_addc_u32 s42, s42, s43
	s_mul_i32 s6, s8, s42
	s_mul_hi_u32 s7, s8, s44
	s_add_i32 s6, s7, s6
	s_mul_i32 s9, s9, s44
	s_add_i32 s6, s6, s9
	s_mul_i32 s8, s8, s44
	s_mul_hi_u32 s9, s42, s8
	s_mul_i32 s43, s42, s8
	s_mul_i32 s46, s44, s6
	s_mul_hi_u32 s8, s44, s8
	s_mul_hi_u32 s45, s44, s6
	s_add_u32 s8, s8, s46
	s_addc_u32 s45, 0, s45
	s_add_u32 s8, s8, s43
	s_mul_hi_u32 s7, s42, s6
	s_addc_u32 s8, s45, s9
	s_addc_u32 s7, s7, 0
	s_mul_i32 s6, s42, s6
	s_add_u32 s6, s8, s6
	s_addc_u32 s8, 0, s7
	s_add_u32 s9, s44, s6
	s_cselect_b64 s[6:7], -1, 0
	v_ashrrev_i32_e32 v3, 31, v7
	s_cmp_lg_u64 s[6:7], 0
	v_add_co_u32_e32 v6, vcc, v6, v3
	s_addc_u32 s8, s42, s8
	v_xor_b32_e32 v10, v6, v3
	v_addc_co_u32_e32 v8, vcc, v7, v3, vcc
	v_mad_u64_u32 v[6:7], s[6:7], v10, s8, 0
	v_mul_hi_u32 v9, v10, s9
	v_xor_b32_e32 v11, v8, v3
	v_add_co_u32_e32 v12, vcc, v9, v6
	v_addc_co_u32_e32 v13, vcc, 0, v7, vcc
	v_mad_u64_u32 v[6:7], s[6:7], v11, s9, 0
	v_mad_u64_u32 v[8:9], s[6:7], v11, s8, 0
	v_add_co_u32_e32 v6, vcc, v12, v6
	v_addc_co_u32_e32 v6, vcc, v13, v7, vcc
	v_addc_co_u32_e32 v7, vcc, 0, v9, vcc
	v_add_co_u32_e32 v6, vcc, v6, v8
	v_addc_co_u32_e32 v7, vcc, 0, v7, vcc
	v_mul_lo_u32 v8, s41, v6
	v_mul_lo_u32 v9, s40, v7
	v_mad_u64_u32 v[6:7], s[6:7], s40, v6, 0
	v_add3_u32 v7, v7, v9, v8
	v_sub_u32_e32 v8, v11, v7
	v_mov_b32_e32 v9, s41
	v_sub_co_u32_e32 v6, vcc, v10, v6
	v_subb_co_u32_e64 v8, s[6:7], v8, v9, vcc
	v_subrev_co_u32_e64 v10, s[6:7], s40, v6
	v_subbrev_co_u32_e64 v12, s[8:9], 0, v8, s[6:7]
	v_cmp_le_u32_e64 s[8:9], s41, v12
	v_cndmask_b32_e64 v13, 0, -1, s[8:9]
	v_cmp_le_u32_e64 s[8:9], s40, v10
	v_subb_co_u32_e64 v8, s[6:7], v8, v9, s[6:7]
	v_cndmask_b32_e64 v14, 0, -1, s[8:9]
	v_cmp_eq_u32_e64 s[8:9], s41, v12
	v_subrev_co_u32_e64 v9, s[6:7], s40, v10
	v_subb_co_u32_e32 v7, vcc, v11, v7, vcc
	v_cndmask_b32_e64 v13, v13, v14, s[8:9]
	v_subbrev_co_u32_e64 v8, s[6:7], 0, v8, s[6:7]
	v_cmp_le_u32_e32 vcc, s41, v7
	v_cmp_ne_u32_e64 s[6:7], 0, v13
	v_cndmask_b32_e64 v11, 0, -1, vcc
	v_cmp_le_u32_e32 vcc, s40, v6
	v_cndmask_b32_e64 v8, v12, v8, s[6:7]
	v_cndmask_b32_e64 v12, 0, -1, vcc
	v_cmp_eq_u32_e32 vcc, s41, v7
	v_cndmask_b32_e32 v11, v11, v12, vcc
	v_cmp_ne_u32_e32 vcc, 0, v11
	v_cndmask_b32_e32 v7, v7, v8, vcc
	v_cndmask_b32_e64 v8, v10, v9, s[6:7]
	v_cndmask_b32_e32 v6, v6, v8, vcc
	v_xor_b32_e32 v6, v6, v3
	v_xor_b32_e32 v7, v7, v3
	v_sub_co_u32_e32 v8, vcc, v6, v3
	v_subb_co_u32_e32 v9, vcc, v7, v3, vcc
                                        ; implicit-def: $vgpr6_vgpr7
.LBB0_42:                               ;   in Loop: Header=BB0_4 Depth=1
	s_andn2_saveexec_b64 s[6:7], s[38:39]
	s_cbranch_execz .LBB0_44
; %bb.43:                               ;   in Loop: Header=BB0_4 Depth=1
	v_cvt_f32_u32_e32 v3, s18
	s_sub_i32 s8, 0, s18
	v_mov_b32_e32 v9, v2
	v_rcp_iflag_f32_e32 v3, v3
	v_mul_f32_e32 v3, 0x4f7ffffe, v3
	v_cvt_u32_f32_e32 v3, v3
	v_mul_lo_u32 v7, s8, v3
	v_mul_hi_u32 v7, v3, v7
	v_add_u32_e32 v3, v3, v7
	v_mul_hi_u32 v3, v6, v3
	v_mul_lo_u32 v3, v3, s18
	v_sub_u32_e32 v3, v6, v3
	v_subrev_u32_e32 v6, s18, v3
	v_cmp_le_u32_e32 vcc, s18, v3
	v_cndmask_b32_e32 v3, v3, v6, vcc
	v_subrev_u32_e32 v6, s18, v3
	v_cmp_le_u32_e32 vcc, s18, v3
	v_cndmask_b32_e32 v8, v3, v6, vcc
.LBB0_44:                               ;   in Loop: Header=BB0_4 Depth=1
	s_or_b64 exec, exec, s[6:7]
	v_mad_u64_u32 v[4:5], s[6:7], s22, v8, v[4:5]
	v_mul_lo_u32 v3, s22, v9
	v_mul_lo_u32 v6, s23, v8
	v_add3_u32 v5, v6, v5, v3
.LBB0_45:                               ;   in Loop: Header=BB0_4 Depth=1
	s_andn2_b64 vcc, exec, s[28:29]
	s_cbranch_vccnz .LBB0_2
; %bb.46:                               ;   in Loop: Header=BB0_4 Depth=1
	v_mov_b32_e32 v6, 0
	v_mov_b32_e32 v9, v1
	s_mov_b32 s46, 0
	v_mov_b32_e32 v7, 0
	s_mov_b64 s[8:9], s[34:35]
	v_mov_b32_e32 v8, v0
.LBB0_47:                               ;   Parent Loop BB0_4 Depth=1
                                        ; =>  This Inner Loop Header: Depth=2
	s_load_dwordx2 s[38:39], s[8:9], 0x0
                                        ; implicit-def: $vgpr10_vgpr11
	s_waitcnt lgkmcnt(0)
	v_or_b32_e32 v3, s39, v9
	v_cmp_ne_u64_e32 vcc, 0, v[2:3]
	s_and_saveexec_b64 s[6:7], vcc
	s_xor_b64 s[40:41], exec, s[6:7]
	s_cbranch_execz .LBB0_49
; %bb.48:                               ;   in Loop: Header=BB0_47 Depth=2
	s_ashr_i32 s42, s39, 31
	s_add_u32 s6, s38, s42
	s_mov_b32 s43, s42
	s_addc_u32 s7, s39, s42
	s_xor_b64 s[44:45], s[6:7], s[42:43]
	v_cvt_f32_u32_e32 v3, s44
	v_cvt_f32_u32_e32 v10, s45
	s_sub_u32 s43, 0, s44
	s_subb_u32 s47, 0, s45
	v_mac_f32_e32 v3, 0x4f800000, v10
	v_rcp_f32_e32 v3, v3
	v_mul_f32_e32 v3, 0x5f7ffffc, v3
	v_mul_f32_e32 v10, 0x2f800000, v3
	v_trunc_f32_e32 v10, v10
	v_mac_f32_e32 v3, 0xcf800000, v10
	v_cvt_u32_f32_e32 v10, v10
	v_cvt_u32_f32_e32 v3, v3
	v_readfirstlane_b32 s48, v10
	v_readfirstlane_b32 s6, v3
	s_mul_i32 s7, s43, s48
	s_mul_hi_u32 s50, s43, s6
	s_mul_i32 s49, s47, s6
	s_add_i32 s7, s50, s7
	s_add_i32 s7, s7, s49
	s_mul_i32 s51, s43, s6
	s_mul_i32 s50, s6, s7
	s_mul_hi_u32 s52, s6, s51
	s_mul_hi_u32 s49, s6, s7
	s_add_u32 s50, s52, s50
	s_addc_u32 s49, 0, s49
	s_mul_hi_u32 s53, s48, s51
	s_mul_i32 s51, s48, s51
	s_add_u32 s50, s50, s51
	s_mul_hi_u32 s52, s48, s7
	s_addc_u32 s49, s49, s53
	s_addc_u32 s50, s52, 0
	s_mul_i32 s7, s48, s7
	s_add_u32 s7, s49, s7
	s_addc_u32 s49, 0, s50
	s_add_u32 s50, s6, s7
	s_cselect_b64 s[6:7], -1, 0
	s_cmp_lg_u64 s[6:7], 0
	s_addc_u32 s48, s48, s49
	s_mul_i32 s6, s43, s48
	s_mul_hi_u32 s7, s43, s50
	s_add_i32 s6, s7, s6
	s_mul_i32 s47, s47, s50
	s_add_i32 s6, s6, s47
	s_mul_i32 s43, s43, s50
	s_mul_hi_u32 s47, s48, s43
	s_mul_i32 s49, s48, s43
	s_mul_i32 s52, s50, s6
	s_mul_hi_u32 s43, s50, s43
	s_mul_hi_u32 s51, s50, s6
	s_add_u32 s43, s43, s52
	s_addc_u32 s51, 0, s51
	s_add_u32 s43, s43, s49
	s_mul_hi_u32 s7, s48, s6
	s_addc_u32 s43, s51, s47
	s_addc_u32 s7, s7, 0
	s_mul_i32 s6, s48, s6
	s_add_u32 s6, s43, s6
	s_addc_u32 s43, 0, s7
	s_add_u32 s47, s50, s6
	s_cselect_b64 s[6:7], -1, 0
	v_ashrrev_i32_e32 v3, 31, v9
	s_cmp_lg_u64 s[6:7], 0
	v_add_co_u32_e32 v10, vcc, v8, v3
	s_addc_u32 s43, s48, s43
	v_xor_b32_e32 v14, v10, v3
	v_mad_u64_u32 v[10:11], s[6:7], v14, s43, 0
	v_mul_hi_u32 v13, v14, s47
	v_addc_co_u32_e32 v12, vcc, v9, v3, vcc
	v_xor_b32_e32 v15, v12, v3
	v_add_co_u32_e32 v16, vcc, v13, v10
	v_addc_co_u32_e32 v17, vcc, 0, v11, vcc
	v_mad_u64_u32 v[10:11], s[6:7], v15, s47, 0
	v_mad_u64_u32 v[12:13], s[6:7], v15, s43, 0
	v_add_co_u32_e32 v10, vcc, v16, v10
	v_addc_co_u32_e32 v10, vcc, v17, v11, vcc
	v_addc_co_u32_e32 v11, vcc, 0, v13, vcc
	v_add_co_u32_e32 v12, vcc, v10, v12
	v_addc_co_u32_e32 v13, vcc, 0, v11, vcc
	v_mul_lo_u32 v16, s45, v12
	v_mul_lo_u32 v17, s44, v13
	v_mad_u64_u32 v[10:11], s[6:7], s44, v12, 0
	v_xor_b32_e32 v3, s42, v3
	v_add3_u32 v11, v11, v17, v16
	v_sub_u32_e32 v16, v15, v11
	v_mov_b32_e32 v17, s45
	v_sub_co_u32_e32 v10, vcc, v14, v10
	v_subb_co_u32_e64 v14, s[6:7], v16, v17, vcc
	v_subrev_co_u32_e64 v16, s[6:7], s44, v10
	v_subbrev_co_u32_e64 v14, s[6:7], 0, v14, s[6:7]
	v_cmp_le_u32_e64 s[6:7], s45, v14
	v_cndmask_b32_e64 v17, 0, -1, s[6:7]
	v_cmp_le_u32_e64 s[6:7], s44, v16
	v_cndmask_b32_e64 v16, 0, -1, s[6:7]
	v_cmp_eq_u32_e64 s[6:7], s45, v14
	v_cndmask_b32_e64 v14, v17, v16, s[6:7]
	v_add_co_u32_e64 v16, s[6:7], 2, v12
	v_subb_co_u32_e32 v11, vcc, v15, v11, vcc
	v_addc_co_u32_e64 v17, s[6:7], 0, v13, s[6:7]
	v_cmp_le_u32_e32 vcc, s45, v11
	v_add_co_u32_e64 v18, s[6:7], 1, v12
	v_cndmask_b32_e64 v15, 0, -1, vcc
	v_cmp_le_u32_e32 vcc, s44, v10
	v_addc_co_u32_e64 v19, s[6:7], 0, v13, s[6:7]
	v_cndmask_b32_e64 v10, 0, -1, vcc
	v_cmp_eq_u32_e32 vcc, s45, v11
	v_cmp_ne_u32_e64 s[6:7], 0, v14
	v_cndmask_b32_e32 v10, v15, v10, vcc
	v_cndmask_b32_e64 v14, v19, v17, s[6:7]
	v_cmp_ne_u32_e32 vcc, 0, v10
	v_cndmask_b32_e64 v11, v18, v16, s[6:7]
	v_cndmask_b32_e32 v10, v13, v14, vcc
	v_cndmask_b32_e32 v11, v12, v11, vcc
	v_xor_b32_e32 v12, v10, v3
	v_xor_b32_e32 v10, v11, v3
	v_sub_co_u32_e32 v10, vcc, v10, v3
	v_subb_co_u32_e32 v11, vcc, v12, v3, vcc
.LBB0_49:                               ;   in Loop: Header=BB0_47 Depth=2
	s_andn2_saveexec_b64 s[6:7], s[40:41]
	s_cbranch_execz .LBB0_51
; %bb.50:                               ;   in Loop: Header=BB0_47 Depth=2
	v_cvt_f32_u32_e32 v3, s38
	s_sub_i32 s40, 0, s38
	v_rcp_iflag_f32_e32 v3, v3
	v_mul_f32_e32 v3, 0x4f7ffffe, v3
	v_cvt_u32_f32_e32 v3, v3
	v_mul_lo_u32 v10, s40, v3
	v_mul_hi_u32 v10, v3, v10
	v_add_u32_e32 v3, v3, v10
	v_mul_hi_u32 v3, v8, v3
	v_mul_lo_u32 v10, v3, s38
	v_add_u32_e32 v11, 1, v3
	v_sub_u32_e32 v10, v8, v10
	v_subrev_u32_e32 v12, s38, v10
	v_cmp_le_u32_e32 vcc, s38, v10
	v_cndmask_b32_e32 v10, v10, v12, vcc
	v_cndmask_b32_e32 v3, v3, v11, vcc
	v_add_u32_e32 v11, 1, v3
	v_cmp_le_u32_e32 vcc, s38, v10
	v_cndmask_b32_e32 v10, v3, v11, vcc
	v_mov_b32_e32 v11, v2
.LBB0_51:                               ;   in Loop: Header=BB0_47 Depth=2
	s_or_b64 exec, exec, s[6:7]
	v_mul_lo_u32 v3, v11, s38
	v_mul_lo_u32 v14, v10, s39
	v_mad_u64_u32 v[12:13], s[6:7], v10, s38, 0
	s_lshr_b32 s6, s58, s46
	s_bitcmp0_b32 s6, 0
	v_add3_u32 v3, v13, v14, v3
	v_sub_co_u32_e32 v8, vcc, v8, v12
	v_subb_co_u32_e32 v9, vcc, v9, v3, vcc
	s_cbranch_scc1 .LBB0_58
; %bb.52:                               ;   in Loop: Header=BB0_47 Depth=2
	v_cmp_ne_u64_e32 vcc, 0, v[8:9]
	s_mov_b64 s[6:7], 0
	s_and_saveexec_b64 s[40:41], vcc
; %bb.53:                               ;   in Loop: Header=BB0_47 Depth=2
	v_mov_b32_e32 v3, s39
	v_sub_co_u32_e32 v8, vcc, s38, v8
	s_mov_b64 s[6:7], exec
	v_subb_co_u32_e32 v9, vcc, v3, v9, vcc
; %bb.54:                               ;   in Loop: Header=BB0_47 Depth=2
	s_or_b64 exec, exec, s[40:41]
	s_and_saveexec_b64 s[38:39], s[6:7]
	s_cbranch_execz .LBB0_56
.LBB0_55:                               ;   in Loop: Header=BB0_47 Depth=2
	s_load_dwordx2 s[6:7], s[8:9], 0x80
	s_waitcnt lgkmcnt(0)
	v_mad_u64_u32 v[6:7], s[40:41], s6, v8, v[6:7]
	v_mul_lo_u32 v3, s6, v9
	v_mul_lo_u32 v8, s7, v8
	v_add3_u32 v7, v8, v7, v3
.LBB0_56:                               ;   in Loop: Header=BB0_47 Depth=2
	s_or_b64 exec, exec, s[38:39]
	s_add_i32 s46, s46, 1
	s_add_u32 s8, s8, 8
	s_addc_u32 s9, s9, 0
	s_cmp_lg_u32 s33, s46
	s_cbranch_scc0 .LBB0_3
; %bb.57:                               ;   in Loop: Header=BB0_47 Depth=2
	v_mov_b32_e32 v8, v10
	v_mov_b32_e32 v9, v11
	s_branch .LBB0_47
.LBB0_58:                               ;   in Loop: Header=BB0_47 Depth=2
	s_mov_b64 s[6:7], -1
	s_and_saveexec_b64 s[38:39], s[6:7]
	s_cbranch_execnz .LBB0_55
	s_branch .LBB0_56
.LBB0_59:
	s_endpgm
	.section	.rodata,"a",@progbits
	.p2align	6, 0x0
	.amdhsa_kernel _ZN2at6native26_fft_conjugate_copy_kernelIN3c107complexIdEE16OffsetCalculatorILi1ElLb0EENS0_33HermitianSymmetryOffsetCalculatorIlEEEEvlPT_PKS9_T0_T1_
		.amdhsa_group_segment_fixed_size 0
		.amdhsa_private_segment_fixed_size 0
		.amdhsa_kernarg_size 816
		.amdhsa_user_sgpr_count 6
		.amdhsa_user_sgpr_private_segment_buffer 1
		.amdhsa_user_sgpr_dispatch_ptr 0
		.amdhsa_user_sgpr_queue_ptr 0
		.amdhsa_user_sgpr_kernarg_segment_ptr 1
		.amdhsa_user_sgpr_dispatch_id 0
		.amdhsa_user_sgpr_flat_scratch_init 0
		.amdhsa_user_sgpr_private_segment_size 0
		.amdhsa_uses_dynamic_stack 0
		.amdhsa_system_sgpr_private_segment_wavefront_offset 0
		.amdhsa_system_sgpr_workgroup_id_x 1
		.amdhsa_system_sgpr_workgroup_id_y 0
		.amdhsa_system_sgpr_workgroup_id_z 0
		.amdhsa_system_sgpr_workgroup_info 0
		.amdhsa_system_vgpr_workitem_id 0
		.amdhsa_next_free_vgpr 24
		.amdhsa_next_free_sgpr 70
		.amdhsa_reserve_vcc 1
		.amdhsa_reserve_flat_scratch 0
		.amdhsa_float_round_mode_32 0
		.amdhsa_float_round_mode_16_64 0
		.amdhsa_float_denorm_mode_32 3
		.amdhsa_float_denorm_mode_16_64 3
		.amdhsa_dx10_clamp 1
		.amdhsa_ieee_mode 1
		.amdhsa_fp16_overflow 0
		.amdhsa_exception_fp_ieee_invalid_op 0
		.amdhsa_exception_fp_denorm_src 0
		.amdhsa_exception_fp_ieee_div_zero 0
		.amdhsa_exception_fp_ieee_overflow 0
		.amdhsa_exception_fp_ieee_underflow 0
		.amdhsa_exception_fp_ieee_inexact 0
		.amdhsa_exception_int_div_zero 0
	.end_amdhsa_kernel
	.section	.text._ZN2at6native26_fft_conjugate_copy_kernelIN3c107complexIdEE16OffsetCalculatorILi1ElLb0EENS0_33HermitianSymmetryOffsetCalculatorIlEEEEvlPT_PKS9_T0_T1_,"axG",@progbits,_ZN2at6native26_fft_conjugate_copy_kernelIN3c107complexIdEE16OffsetCalculatorILi1ElLb0EENS0_33HermitianSymmetryOffsetCalculatorIlEEEEvlPT_PKS9_T0_T1_,comdat
.Lfunc_end0:
	.size	_ZN2at6native26_fft_conjugate_copy_kernelIN3c107complexIdEE16OffsetCalculatorILi1ElLb0EENS0_33HermitianSymmetryOffsetCalculatorIlEEEEvlPT_PKS9_T0_T1_, .Lfunc_end0-_ZN2at6native26_fft_conjugate_copy_kernelIN3c107complexIdEE16OffsetCalculatorILi1ElLb0EENS0_33HermitianSymmetryOffsetCalculatorIlEEEEvlPT_PKS9_T0_T1_
                                        ; -- End function
	.set _ZN2at6native26_fft_conjugate_copy_kernelIN3c107complexIdEE16OffsetCalculatorILi1ElLb0EENS0_33HermitianSymmetryOffsetCalculatorIlEEEEvlPT_PKS9_T0_T1_.num_vgpr, 24
	.set _ZN2at6native26_fft_conjugate_copy_kernelIN3c107complexIdEE16OffsetCalculatorILi1ElLb0EENS0_33HermitianSymmetryOffsetCalculatorIlEEEEvlPT_PKS9_T0_T1_.num_agpr, 0
	.set _ZN2at6native26_fft_conjugate_copy_kernelIN3c107complexIdEE16OffsetCalculatorILi1ElLb0EENS0_33HermitianSymmetryOffsetCalculatorIlEEEEvlPT_PKS9_T0_T1_.numbered_sgpr, 70
	.set _ZN2at6native26_fft_conjugate_copy_kernelIN3c107complexIdEE16OffsetCalculatorILi1ElLb0EENS0_33HermitianSymmetryOffsetCalculatorIlEEEEvlPT_PKS9_T0_T1_.num_named_barrier, 0
	.set _ZN2at6native26_fft_conjugate_copy_kernelIN3c107complexIdEE16OffsetCalculatorILi1ElLb0EENS0_33HermitianSymmetryOffsetCalculatorIlEEEEvlPT_PKS9_T0_T1_.private_seg_size, 0
	.set _ZN2at6native26_fft_conjugate_copy_kernelIN3c107complexIdEE16OffsetCalculatorILi1ElLb0EENS0_33HermitianSymmetryOffsetCalculatorIlEEEEvlPT_PKS9_T0_T1_.uses_vcc, 1
	.set _ZN2at6native26_fft_conjugate_copy_kernelIN3c107complexIdEE16OffsetCalculatorILi1ElLb0EENS0_33HermitianSymmetryOffsetCalculatorIlEEEEvlPT_PKS9_T0_T1_.uses_flat_scratch, 0
	.set _ZN2at6native26_fft_conjugate_copy_kernelIN3c107complexIdEE16OffsetCalculatorILi1ElLb0EENS0_33HermitianSymmetryOffsetCalculatorIlEEEEvlPT_PKS9_T0_T1_.has_dyn_sized_stack, 0
	.set _ZN2at6native26_fft_conjugate_copy_kernelIN3c107complexIdEE16OffsetCalculatorILi1ElLb0EENS0_33HermitianSymmetryOffsetCalculatorIlEEEEvlPT_PKS9_T0_T1_.has_recursion, 0
	.set _ZN2at6native26_fft_conjugate_copy_kernelIN3c107complexIdEE16OffsetCalculatorILi1ElLb0EENS0_33HermitianSymmetryOffsetCalculatorIlEEEEvlPT_PKS9_T0_T1_.has_indirect_call, 0
	.section	.AMDGPU.csdata,"",@progbits
; Kernel info:
; codeLenInByte = 7232
; TotalNumSgprs: 74
; NumVgprs: 24
; ScratchSize: 0
; MemoryBound: 0
; FloatMode: 240
; IeeeMode: 1
; LDSByteSize: 0 bytes/workgroup (compile time only)
; SGPRBlocks: 9
; VGPRBlocks: 5
; NumSGPRsForWavesPerEU: 74
; NumVGPRsForWavesPerEU: 24
; Occupancy: 10
; WaveLimiterHint : 1
; COMPUTE_PGM_RSRC2:SCRATCH_EN: 0
; COMPUTE_PGM_RSRC2:USER_SGPR: 6
; COMPUTE_PGM_RSRC2:TRAP_HANDLER: 0
; COMPUTE_PGM_RSRC2:TGID_X_EN: 1
; COMPUTE_PGM_RSRC2:TGID_Y_EN: 0
; COMPUTE_PGM_RSRC2:TGID_Z_EN: 0
; COMPUTE_PGM_RSRC2:TIDIG_COMP_CNT: 0
	.section	.text._ZN2at6native26_fft_conjugate_copy_kernelIN3c107complexIfEE16OffsetCalculatorILi1ElLb0EENS0_33HermitianSymmetryOffsetCalculatorIlEEEEvlPT_PKS9_T0_T1_,"axG",@progbits,_ZN2at6native26_fft_conjugate_copy_kernelIN3c107complexIfEE16OffsetCalculatorILi1ElLb0EENS0_33HermitianSymmetryOffsetCalculatorIlEEEEvlPT_PKS9_T0_T1_,comdat
	.protected	_ZN2at6native26_fft_conjugate_copy_kernelIN3c107complexIfEE16OffsetCalculatorILi1ElLb0EENS0_33HermitianSymmetryOffsetCalculatorIlEEEEvlPT_PKS9_T0_T1_ ; -- Begin function _ZN2at6native26_fft_conjugate_copy_kernelIN3c107complexIfEE16OffsetCalculatorILi1ElLb0EENS0_33HermitianSymmetryOffsetCalculatorIlEEEEvlPT_PKS9_T0_T1_
	.globl	_ZN2at6native26_fft_conjugate_copy_kernelIN3c107complexIfEE16OffsetCalculatorILi1ElLb0EENS0_33HermitianSymmetryOffsetCalculatorIlEEEEvlPT_PKS9_T0_T1_
	.p2align	8
	.type	_ZN2at6native26_fft_conjugate_copy_kernelIN3c107complexIfEE16OffsetCalculatorILi1ElLb0EENS0_33HermitianSymmetryOffsetCalculatorIlEEEEvlPT_PKS9_T0_T1_,@function
_ZN2at6native26_fft_conjugate_copy_kernelIN3c107complexIfEE16OffsetCalculatorILi1ElLb0EENS0_33HermitianSymmetryOffsetCalculatorIlEEEEvlPT_PKS9_T0_T1_: ; @_ZN2at6native26_fft_conjugate_copy_kernelIN3c107complexIfEE16OffsetCalculatorILi1ElLb0EENS0_33HermitianSymmetryOffsetCalculatorIlEEEEvlPT_PKS9_T0_T1_
; %bb.0:
	s_load_dword s2, s[4:5], 0x23c
	s_load_dwordx4 s[12:15], s[4:5], 0x0
	s_add_u32 s0, s4, 0x230
	v_mov_b32_e32 v2, 0
	s_addc_u32 s1, s5, 0
	s_waitcnt lgkmcnt(0)
	s_and_b32 s2, s2, 0xffff
	v_mov_b32_e32 v1, v2
	v_mov_b32_e32 v3, s6
	v_mad_u64_u32 v[0:1], s[6:7], s2, v3, v[0:1]
	v_cmp_gt_i64_e32 vcc, s[12:13], v[0:1]
	s_and_saveexec_b64 s[6:7], vcc
	s_cbranch_execz .LBB1_59
; %bb.1:
	s_load_dword s3, s[4:5], 0x18
	s_load_dwordx2 s[10:11], s[4:5], 0x10
	s_load_dword s8, s[0:1], 0x0
	s_load_dword s33, s[4:5], 0x120
	s_load_dwordx4 s[16:19], s[4:5], 0x20
	s_load_dwordx4 s[20:23], s[4:5], 0xa0
	s_load_dword s58, s[4:5], 0x228
	s_waitcnt lgkmcnt(0)
	v_sub_co_u32_e64 v3, s[0:1], s3, 1
	s_xor_b64 s[6:7], s[0:1], -1
	v_readfirstlane_b32 s0, v3
	s_add_u32 s24, s4, 32
	s_addc_u32 s25, s5, 0
	s_min_u32 s0, s0, 15
	s_cmp_gt_u32 s3, 1
	s_cselect_b64 s[26:27], -1, 0
	s_cmp_gt_i32 s33, 0
	s_cselect_b64 s[28:29], -1, 0
	s_mul_i32 s59, s8, s2
	s_add_i32 s2, s0, 1
	s_and_b32 s60, s2, 3
	s_and_b32 s61, s2, 28
	s_cmp_lg_u32 s60, 0
	v_cmp_lt_u32_e32 vcc, 1, v3
	v_cmp_ne_u32_e64 s[0:1], 2, v3
	s_cselect_b64 s[30:31], -1, 0
	s_add_u32 s34, s4, 0x128
	v_cndmask_b32_e64 v3, 0, 1, vcc
	v_cndmask_b32_e64 v4, 0, 1, s[6:7]
	s_addc_u32 s35, s5, 0
	s_mov_b64 s[36:37], 0
	v_cmp_ne_u32_e64 s[2:3], 1, v3
	v_cmp_ne_u32_e64 s[4:5], 1, v4
	s_branch .LBB1_4
.LBB1_2:                                ;   in Loop: Header=BB1_4 Depth=1
	v_mov_b32_e32 v6, 0
	v_mov_b32_e32 v7, 0
.LBB1_3:                                ;   in Loop: Header=BB1_4 Depth=1
	v_lshlrev_b64 v[3:4], 3, v[4:5]
	v_mov_b32_e32 v5, s11
	v_add_co_u32_e32 v3, vcc, s10, v3
	v_addc_co_u32_e32 v4, vcc, v5, v4, vcc
	global_load_dwordx2 v[3:4], v[3:4], off
	v_add_co_u32_e32 v0, vcc, s59, v0
	v_lshlrev_b64 v[5:6], 3, v[6:7]
	v_addc_co_u32_e32 v1, vcc, 0, v1, vcc
	v_cmp_le_i64_e32 vcc, s[12:13], v[0:1]
	v_mov_b32_e32 v7, s15
	v_add_co_u32_e64 v5, s[6:7], s14, v5
	v_addc_co_u32_e64 v6, s[6:7], v7, v6, s[6:7]
	s_or_b64 s[36:37], vcc, s[36:37]
	s_waitcnt vmcnt(0)
	v_xor_b32_e32 v4, 0x80000000, v4
	global_store_dwordx2 v[5:6], v[3:4], off
	s_andn2_b64 exec, exec, s[36:37]
	s_cbranch_execz .LBB1_59
.LBB1_4:                                ; =>This Loop Header: Depth=1
                                        ;     Child Loop BB1_7 Depth 2
                                        ;     Child Loop BB1_29 Depth 2
	;; [unrolled: 1-line block ×3, first 2 shown]
	s_and_b64 vcc, exec, s[2:3]
	s_mov_b64 s[6:7], -1
                                        ; implicit-def: $vgpr4_vgpr5
	s_cbranch_vccnz .LBB1_34
; %bb.5:                                ;   in Loop: Header=BB1_4 Depth=1
	v_mov_b32_e32 v4, 0
	v_mov_b32_e32 v5, 0
	s_and_b64 vcc, exec, s[4:5]
	s_cbranch_vccnz .LBB1_33
; %bb.6:                                ;   in Loop: Header=BB1_4 Depth=1
	v_mov_b32_e32 v4, 0
	v_mov_b32_e32 v7, v1
	;; [unrolled: 1-line block ×4, first 2 shown]
	s_mov_b32 s62, 0
	s_and_b64 vcc, exec, s[0:1]
	s_mov_b64 s[8:9], s[24:25]
	v_mov_b32_e32 v6, v0
	v_mov_b32_e32 v12, v0
	s_cbranch_vccz .LBB1_26
.LBB1_7:                                ;   Parent Loop BB1_4 Depth=1
                                        ; =>  This Inner Loop Header: Depth=2
	s_load_dwordx2 s[38:39], s[8:9], 0x0
                                        ; implicit-def: $vgpr8_vgpr9
	s_waitcnt lgkmcnt(0)
	v_or_b32_e32 v3, s39, v7
	v_cmp_ne_u64_e32 vcc, 0, v[2:3]
	s_and_saveexec_b64 s[6:7], vcc
	s_xor_b64 s[40:41], exec, s[6:7]
	s_cbranch_execz .LBB1_9
; %bb.8:                                ;   in Loop: Header=BB1_7 Depth=2
	s_ashr_i32 s42, s39, 31
	s_add_u32 s6, s38, s42
	s_mov_b32 s43, s42
	s_addc_u32 s7, s39, s42
	s_xor_b64 s[44:45], s[6:7], s[42:43]
	v_cvt_f32_u32_e32 v3, s44
	v_cvt_f32_u32_e32 v8, s45
	s_sub_u32 s43, 0, s44
	s_subb_u32 s46, 0, s45
	v_mac_f32_e32 v3, 0x4f800000, v8
	v_rcp_f32_e32 v3, v3
	v_mul_f32_e32 v3, 0x5f7ffffc, v3
	v_mul_f32_e32 v8, 0x2f800000, v3
	v_trunc_f32_e32 v8, v8
	v_mac_f32_e32 v3, 0xcf800000, v8
	v_cvt_u32_f32_e32 v8, v8
	v_cvt_u32_f32_e32 v3, v3
	v_readfirstlane_b32 s47, v8
	v_readfirstlane_b32 s6, v3
	s_mul_i32 s7, s43, s47
	s_mul_hi_u32 s49, s43, s6
	s_mul_i32 s48, s46, s6
	s_add_i32 s7, s49, s7
	s_add_i32 s7, s7, s48
	s_mul_i32 s50, s43, s6
	s_mul_i32 s49, s6, s7
	s_mul_hi_u32 s51, s6, s50
	s_mul_hi_u32 s48, s6, s7
	s_add_u32 s49, s51, s49
	s_addc_u32 s48, 0, s48
	s_mul_hi_u32 s52, s47, s50
	s_mul_i32 s50, s47, s50
	s_add_u32 s49, s49, s50
	s_mul_hi_u32 s51, s47, s7
	s_addc_u32 s48, s48, s52
	s_addc_u32 s49, s51, 0
	s_mul_i32 s7, s47, s7
	s_add_u32 s7, s48, s7
	s_addc_u32 s48, 0, s49
	s_add_u32 s49, s6, s7
	s_cselect_b64 s[6:7], -1, 0
	s_cmp_lg_u64 s[6:7], 0
	s_addc_u32 s47, s47, s48
	s_mul_i32 s6, s43, s47
	s_mul_hi_u32 s7, s43, s49
	s_add_i32 s6, s7, s6
	s_mul_i32 s46, s46, s49
	s_add_i32 s6, s6, s46
	s_mul_i32 s43, s43, s49
	s_mul_hi_u32 s46, s47, s43
	s_mul_i32 s48, s47, s43
	s_mul_i32 s51, s49, s6
	s_mul_hi_u32 s43, s49, s43
	s_mul_hi_u32 s50, s49, s6
	s_add_u32 s43, s43, s51
	s_addc_u32 s50, 0, s50
	s_add_u32 s43, s43, s48
	s_mul_hi_u32 s7, s47, s6
	s_addc_u32 s43, s50, s46
	s_addc_u32 s7, s7, 0
	s_mul_i32 s6, s47, s6
	s_add_u32 s6, s43, s6
	s_addc_u32 s43, 0, s7
	s_add_u32 s46, s49, s6
	s_cselect_b64 s[6:7], -1, 0
	v_ashrrev_i32_e32 v3, 31, v7
	s_cmp_lg_u64 s[6:7], 0
	v_add_co_u32_e32 v8, vcc, v6, v3
	s_addc_u32 s43, s47, s43
	v_xor_b32_e32 v12, v8, v3
	v_mad_u64_u32 v[8:9], s[6:7], v12, s43, 0
	v_mul_hi_u32 v11, v12, s46
	v_addc_co_u32_e32 v10, vcc, v7, v3, vcc
	v_xor_b32_e32 v13, v10, v3
	v_add_co_u32_e32 v14, vcc, v11, v8
	v_addc_co_u32_e32 v15, vcc, 0, v9, vcc
	v_mad_u64_u32 v[8:9], s[6:7], v13, s46, 0
	v_mad_u64_u32 v[10:11], s[6:7], v13, s43, 0
	v_add_co_u32_e32 v8, vcc, v14, v8
	v_addc_co_u32_e32 v8, vcc, v15, v9, vcc
	v_addc_co_u32_e32 v9, vcc, 0, v11, vcc
	v_add_co_u32_e32 v10, vcc, v8, v10
	v_addc_co_u32_e32 v11, vcc, 0, v9, vcc
	v_mul_lo_u32 v14, s45, v10
	v_mul_lo_u32 v15, s44, v11
	v_mad_u64_u32 v[8:9], s[6:7], s44, v10, 0
	v_xor_b32_e32 v3, s42, v3
	v_add3_u32 v9, v9, v15, v14
	v_sub_u32_e32 v14, v13, v9
	v_mov_b32_e32 v15, s45
	v_sub_co_u32_e32 v8, vcc, v12, v8
	v_subb_co_u32_e64 v12, s[6:7], v14, v15, vcc
	v_subrev_co_u32_e64 v14, s[6:7], s44, v8
	v_subbrev_co_u32_e64 v12, s[6:7], 0, v12, s[6:7]
	v_cmp_le_u32_e64 s[6:7], s45, v12
	v_cndmask_b32_e64 v15, 0, -1, s[6:7]
	v_cmp_le_u32_e64 s[6:7], s44, v14
	v_cndmask_b32_e64 v14, 0, -1, s[6:7]
	v_cmp_eq_u32_e64 s[6:7], s45, v12
	v_cndmask_b32_e64 v12, v15, v14, s[6:7]
	v_add_co_u32_e64 v14, s[6:7], 2, v10
	v_subb_co_u32_e32 v9, vcc, v13, v9, vcc
	v_addc_co_u32_e64 v15, s[6:7], 0, v11, s[6:7]
	v_cmp_le_u32_e32 vcc, s45, v9
	v_add_co_u32_e64 v16, s[6:7], 1, v10
	v_cndmask_b32_e64 v13, 0, -1, vcc
	v_cmp_le_u32_e32 vcc, s44, v8
	v_addc_co_u32_e64 v17, s[6:7], 0, v11, s[6:7]
	v_cndmask_b32_e64 v8, 0, -1, vcc
	v_cmp_eq_u32_e32 vcc, s45, v9
	v_cmp_ne_u32_e64 s[6:7], 0, v12
	v_cndmask_b32_e32 v8, v13, v8, vcc
	v_cndmask_b32_e64 v12, v17, v15, s[6:7]
	v_cmp_ne_u32_e32 vcc, 0, v8
	v_cndmask_b32_e64 v9, v16, v14, s[6:7]
	v_cndmask_b32_e32 v8, v11, v12, vcc
	v_cndmask_b32_e32 v9, v10, v9, vcc
	v_xor_b32_e32 v10, v8, v3
	v_xor_b32_e32 v8, v9, v3
	v_sub_co_u32_e32 v8, vcc, v8, v3
	v_subb_co_u32_e32 v9, vcc, v10, v3, vcc
.LBB1_9:                                ;   in Loop: Header=BB1_7 Depth=2
	s_andn2_saveexec_b64 s[6:7], s[40:41]
	s_cbranch_execz .LBB1_11
; %bb.10:                               ;   in Loop: Header=BB1_7 Depth=2
	v_cvt_f32_u32_e32 v3, s38
	s_sub_i32 s40, 0, s38
	v_rcp_iflag_f32_e32 v3, v3
	v_mul_f32_e32 v3, 0x4f7ffffe, v3
	v_cvt_u32_f32_e32 v3, v3
	v_mul_lo_u32 v8, s40, v3
	v_mul_hi_u32 v8, v3, v8
	v_add_u32_e32 v3, v3, v8
	v_mul_hi_u32 v3, v6, v3
	v_mul_lo_u32 v8, v3, s38
	v_add_u32_e32 v9, 1, v3
	v_sub_u32_e32 v8, v6, v8
	v_subrev_u32_e32 v10, s38, v8
	v_cmp_le_u32_e32 vcc, s38, v8
	v_cndmask_b32_e32 v8, v8, v10, vcc
	v_cndmask_b32_e32 v3, v3, v9, vcc
	v_add_u32_e32 v9, 1, v3
	v_cmp_le_u32_e32 vcc, s38, v8
	v_cndmask_b32_e32 v8, v3, v9, vcc
	v_mov_b32_e32 v9, v2
.LBB1_11:                               ;   in Loop: Header=BB1_7 Depth=2
	s_or_b64 exec, exec, s[6:7]
	s_load_dwordx2 s[40:41], s[8:9], 0x8
	s_load_dwordx2 s[42:43], s[8:9], 0x80
                                        ; implicit-def: $vgpr10_vgpr11
	s_waitcnt lgkmcnt(0)
	v_or_b32_e32 v3, s41, v9
	v_cmp_ne_u64_e32 vcc, 0, v[2:3]
	s_and_saveexec_b64 s[6:7], vcc
	s_xor_b64 s[44:45], exec, s[6:7]
	s_cbranch_execz .LBB1_13
; %bb.12:                               ;   in Loop: Header=BB1_7 Depth=2
	s_ashr_i32 s46, s41, 31
	s_add_u32 s6, s40, s46
	s_mov_b32 s47, s46
	s_addc_u32 s7, s41, s46
	s_xor_b64 s[48:49], s[6:7], s[46:47]
	v_cvt_f32_u32_e32 v3, s48
	v_cvt_f32_u32_e32 v10, s49
	s_sub_u32 s47, 0, s48
	s_subb_u32 s50, 0, s49
	v_mac_f32_e32 v3, 0x4f800000, v10
	v_rcp_f32_e32 v3, v3
	v_mul_f32_e32 v3, 0x5f7ffffc, v3
	v_mul_f32_e32 v10, 0x2f800000, v3
	v_trunc_f32_e32 v10, v10
	v_mac_f32_e32 v3, 0xcf800000, v10
	v_cvt_u32_f32_e32 v10, v10
	v_cvt_u32_f32_e32 v3, v3
	v_readfirstlane_b32 s51, v10
	v_readfirstlane_b32 s6, v3
	s_mul_i32 s7, s47, s51
	s_mul_hi_u32 s53, s47, s6
	s_mul_i32 s52, s50, s6
	s_add_i32 s7, s53, s7
	s_add_i32 s7, s7, s52
	s_mul_i32 s54, s47, s6
	s_mul_i32 s53, s6, s7
	s_mul_hi_u32 s55, s6, s54
	s_mul_hi_u32 s52, s6, s7
	s_add_u32 s53, s55, s53
	s_addc_u32 s52, 0, s52
	s_mul_hi_u32 s56, s51, s54
	s_mul_i32 s54, s51, s54
	s_add_u32 s53, s53, s54
	s_mul_hi_u32 s55, s51, s7
	s_addc_u32 s52, s52, s56
	s_addc_u32 s53, s55, 0
	s_mul_i32 s7, s51, s7
	s_add_u32 s7, s52, s7
	s_addc_u32 s52, 0, s53
	s_add_u32 s53, s6, s7
	s_cselect_b64 s[6:7], -1, 0
	s_cmp_lg_u64 s[6:7], 0
	s_addc_u32 s51, s51, s52
	s_mul_i32 s6, s47, s51
	s_mul_hi_u32 s7, s47, s53
	s_add_i32 s6, s7, s6
	s_mul_i32 s50, s50, s53
	s_add_i32 s6, s6, s50
	s_mul_i32 s47, s47, s53
	s_mul_hi_u32 s50, s51, s47
	s_mul_i32 s52, s51, s47
	s_mul_i32 s55, s53, s6
	s_mul_hi_u32 s47, s53, s47
	s_mul_hi_u32 s54, s53, s6
	s_add_u32 s47, s47, s55
	s_addc_u32 s54, 0, s54
	s_add_u32 s47, s47, s52
	s_mul_hi_u32 s7, s51, s6
	s_addc_u32 s47, s54, s50
	s_addc_u32 s7, s7, 0
	s_mul_i32 s6, s51, s6
	s_add_u32 s6, s47, s6
	s_addc_u32 s47, 0, s7
	s_add_u32 s50, s53, s6
	s_cselect_b64 s[6:7], -1, 0
	v_ashrrev_i32_e32 v3, 31, v9
	s_cmp_lg_u64 s[6:7], 0
	v_add_co_u32_e32 v10, vcc, v8, v3
	s_addc_u32 s47, s51, s47
	v_xor_b32_e32 v14, v10, v3
	v_mad_u64_u32 v[10:11], s[6:7], v14, s47, 0
	v_mul_hi_u32 v13, v14, s50
	v_addc_co_u32_e32 v12, vcc, v9, v3, vcc
	v_xor_b32_e32 v15, v12, v3
	v_add_co_u32_e32 v16, vcc, v13, v10
	v_addc_co_u32_e32 v17, vcc, 0, v11, vcc
	v_mad_u64_u32 v[10:11], s[6:7], v15, s50, 0
	v_mad_u64_u32 v[12:13], s[6:7], v15, s47, 0
	v_add_co_u32_e32 v10, vcc, v16, v10
	v_addc_co_u32_e32 v10, vcc, v17, v11, vcc
	v_addc_co_u32_e32 v11, vcc, 0, v13, vcc
	v_add_co_u32_e32 v12, vcc, v10, v12
	v_addc_co_u32_e32 v13, vcc, 0, v11, vcc
	v_mul_lo_u32 v16, s49, v12
	v_mul_lo_u32 v17, s48, v13
	v_mad_u64_u32 v[10:11], s[6:7], s48, v12, 0
	v_xor_b32_e32 v3, s46, v3
	v_add3_u32 v11, v11, v17, v16
	v_sub_u32_e32 v16, v15, v11
	v_mov_b32_e32 v17, s49
	v_sub_co_u32_e32 v10, vcc, v14, v10
	v_subb_co_u32_e64 v14, s[6:7], v16, v17, vcc
	v_subrev_co_u32_e64 v16, s[6:7], s48, v10
	v_subbrev_co_u32_e64 v14, s[6:7], 0, v14, s[6:7]
	v_cmp_le_u32_e64 s[6:7], s49, v14
	v_cndmask_b32_e64 v17, 0, -1, s[6:7]
	v_cmp_le_u32_e64 s[6:7], s48, v16
	v_cndmask_b32_e64 v16, 0, -1, s[6:7]
	v_cmp_eq_u32_e64 s[6:7], s49, v14
	v_cndmask_b32_e64 v14, v17, v16, s[6:7]
	v_add_co_u32_e64 v16, s[6:7], 2, v12
	v_subb_co_u32_e32 v11, vcc, v15, v11, vcc
	v_addc_co_u32_e64 v17, s[6:7], 0, v13, s[6:7]
	v_cmp_le_u32_e32 vcc, s49, v11
	v_add_co_u32_e64 v18, s[6:7], 1, v12
	v_cndmask_b32_e64 v15, 0, -1, vcc
	v_cmp_le_u32_e32 vcc, s48, v10
	v_addc_co_u32_e64 v19, s[6:7], 0, v13, s[6:7]
	v_cndmask_b32_e64 v10, 0, -1, vcc
	v_cmp_eq_u32_e32 vcc, s49, v11
	v_cmp_ne_u32_e64 s[6:7], 0, v14
	v_cndmask_b32_e32 v10, v15, v10, vcc
	v_cndmask_b32_e64 v14, v19, v17, s[6:7]
	v_cmp_ne_u32_e32 vcc, 0, v10
	v_cndmask_b32_e64 v11, v18, v16, s[6:7]
	v_cndmask_b32_e32 v10, v13, v14, vcc
	v_cndmask_b32_e32 v11, v12, v11, vcc
	v_xor_b32_e32 v12, v10, v3
	v_xor_b32_e32 v10, v11, v3
	v_sub_co_u32_e32 v10, vcc, v10, v3
	v_subb_co_u32_e32 v11, vcc, v12, v3, vcc
.LBB1_13:                               ;   in Loop: Header=BB1_7 Depth=2
	s_andn2_saveexec_b64 s[6:7], s[44:45]
	s_cbranch_execz .LBB1_15
; %bb.14:                               ;   in Loop: Header=BB1_7 Depth=2
	v_cvt_f32_u32_e32 v3, s40
	s_sub_i32 s44, 0, s40
	v_rcp_iflag_f32_e32 v3, v3
	v_mul_f32_e32 v3, 0x4f7ffffe, v3
	v_cvt_u32_f32_e32 v3, v3
	v_mul_lo_u32 v10, s44, v3
	v_mul_hi_u32 v10, v3, v10
	v_add_u32_e32 v3, v3, v10
	v_mul_hi_u32 v3, v8, v3
	v_mul_lo_u32 v10, v3, s40
	v_add_u32_e32 v11, 1, v3
	v_sub_u32_e32 v10, v8, v10
	v_subrev_u32_e32 v12, s40, v10
	v_cmp_le_u32_e32 vcc, s40, v10
	v_cndmask_b32_e32 v10, v10, v12, vcc
	v_cndmask_b32_e32 v3, v3, v11, vcc
	v_add_u32_e32 v11, 1, v3
	v_cmp_le_u32_e32 vcc, s40, v10
	v_cndmask_b32_e32 v10, v3, v11, vcc
	v_mov_b32_e32 v11, v2
.LBB1_15:                               ;   in Loop: Header=BB1_7 Depth=2
	s_or_b64 exec, exec, s[6:7]
	s_load_dwordx2 s[44:45], s[8:9], 0x10
	s_load_dwordx2 s[46:47], s[8:9], 0x88
                                        ; implicit-def: $vgpr14_vgpr15
	s_waitcnt lgkmcnt(0)
	v_or_b32_e32 v3, s45, v11
	v_cmp_ne_u64_e32 vcc, 0, v[2:3]
	s_and_saveexec_b64 s[6:7], vcc
	s_xor_b64 s[48:49], exec, s[6:7]
	s_cbranch_execz .LBB1_17
; %bb.16:                               ;   in Loop: Header=BB1_7 Depth=2
	s_ashr_i32 s50, s45, 31
	s_add_u32 s6, s44, s50
	s_mov_b32 s51, s50
	s_addc_u32 s7, s45, s50
	s_xor_b64 s[52:53], s[6:7], s[50:51]
	v_cvt_f32_u32_e32 v3, s52
	v_cvt_f32_u32_e32 v12, s53
	s_sub_u32 s51, 0, s52
	s_subb_u32 s54, 0, s53
	v_mac_f32_e32 v3, 0x4f800000, v12
	v_rcp_f32_e32 v3, v3
	v_mul_f32_e32 v3, 0x5f7ffffc, v3
	v_mul_f32_e32 v12, 0x2f800000, v3
	v_trunc_f32_e32 v12, v12
	v_mac_f32_e32 v3, 0xcf800000, v12
	v_cvt_u32_f32_e32 v12, v12
	v_cvt_u32_f32_e32 v3, v3
	v_readfirstlane_b32 s55, v12
	v_readfirstlane_b32 s6, v3
	s_mul_i32 s7, s51, s55
	s_mul_hi_u32 s57, s51, s6
	s_mul_i32 s56, s54, s6
	s_add_i32 s7, s57, s7
	s_add_i32 s7, s7, s56
	s_mul_i32 s63, s51, s6
	s_mul_i32 s57, s6, s7
	s_mul_hi_u32 s64, s6, s63
	s_mul_hi_u32 s56, s6, s7
	s_add_u32 s57, s64, s57
	s_addc_u32 s56, 0, s56
	s_mul_hi_u32 s65, s55, s63
	s_mul_i32 s63, s55, s63
	s_add_u32 s57, s57, s63
	s_mul_hi_u32 s64, s55, s7
	s_addc_u32 s56, s56, s65
	s_addc_u32 s57, s64, 0
	s_mul_i32 s7, s55, s7
	s_add_u32 s7, s56, s7
	s_addc_u32 s56, 0, s57
	s_add_u32 s57, s6, s7
	s_cselect_b64 s[6:7], -1, 0
	s_cmp_lg_u64 s[6:7], 0
	s_addc_u32 s55, s55, s56
	s_mul_i32 s6, s51, s55
	s_mul_hi_u32 s7, s51, s57
	s_add_i32 s6, s7, s6
	s_mul_i32 s54, s54, s57
	s_add_i32 s6, s6, s54
	s_mul_i32 s51, s51, s57
	s_mul_hi_u32 s54, s55, s51
	s_mul_i32 s56, s55, s51
	s_mul_i32 s64, s57, s6
	s_mul_hi_u32 s51, s57, s51
	s_mul_hi_u32 s63, s57, s6
	s_add_u32 s51, s51, s64
	s_addc_u32 s63, 0, s63
	s_add_u32 s51, s51, s56
	s_mul_hi_u32 s7, s55, s6
	s_addc_u32 s51, s63, s54
	s_addc_u32 s7, s7, 0
	s_mul_i32 s6, s55, s6
	s_add_u32 s6, s51, s6
	s_addc_u32 s51, 0, s7
	s_add_u32 s54, s57, s6
	s_cselect_b64 s[6:7], -1, 0
	v_ashrrev_i32_e32 v3, 31, v11
	s_cmp_lg_u64 s[6:7], 0
	v_add_co_u32_e32 v12, vcc, v10, v3
	s_addc_u32 s51, s55, s51
	v_xor_b32_e32 v16, v12, v3
	v_mad_u64_u32 v[12:13], s[6:7], v16, s51, 0
	v_mul_hi_u32 v15, v16, s54
	v_addc_co_u32_e32 v14, vcc, v11, v3, vcc
	v_xor_b32_e32 v17, v14, v3
	v_add_co_u32_e32 v18, vcc, v15, v12
	v_addc_co_u32_e32 v19, vcc, 0, v13, vcc
	v_mad_u64_u32 v[12:13], s[6:7], v17, s54, 0
	v_mad_u64_u32 v[14:15], s[6:7], v17, s51, 0
	v_add_co_u32_e32 v12, vcc, v18, v12
	v_addc_co_u32_e32 v12, vcc, v19, v13, vcc
	v_addc_co_u32_e32 v13, vcc, 0, v15, vcc
	v_add_co_u32_e32 v14, vcc, v12, v14
	v_addc_co_u32_e32 v15, vcc, 0, v13, vcc
	v_mul_lo_u32 v18, s53, v14
	v_mul_lo_u32 v19, s52, v15
	v_mad_u64_u32 v[12:13], s[6:7], s52, v14, 0
	v_xor_b32_e32 v3, s50, v3
	v_add3_u32 v13, v13, v19, v18
	v_sub_u32_e32 v18, v17, v13
	v_mov_b32_e32 v19, s53
	v_sub_co_u32_e32 v12, vcc, v16, v12
	v_subb_co_u32_e64 v16, s[6:7], v18, v19, vcc
	v_subrev_co_u32_e64 v18, s[6:7], s52, v12
	v_subbrev_co_u32_e64 v16, s[6:7], 0, v16, s[6:7]
	v_cmp_le_u32_e64 s[6:7], s53, v16
	v_cndmask_b32_e64 v19, 0, -1, s[6:7]
	v_cmp_le_u32_e64 s[6:7], s52, v18
	v_cndmask_b32_e64 v18, 0, -1, s[6:7]
	v_cmp_eq_u32_e64 s[6:7], s53, v16
	v_cndmask_b32_e64 v16, v19, v18, s[6:7]
	v_add_co_u32_e64 v18, s[6:7], 2, v14
	v_subb_co_u32_e32 v13, vcc, v17, v13, vcc
	v_addc_co_u32_e64 v19, s[6:7], 0, v15, s[6:7]
	v_cmp_le_u32_e32 vcc, s53, v13
	v_add_co_u32_e64 v20, s[6:7], 1, v14
	v_cndmask_b32_e64 v17, 0, -1, vcc
	v_cmp_le_u32_e32 vcc, s52, v12
	v_addc_co_u32_e64 v21, s[6:7], 0, v15, s[6:7]
	v_cndmask_b32_e64 v12, 0, -1, vcc
	v_cmp_eq_u32_e32 vcc, s53, v13
	v_cmp_ne_u32_e64 s[6:7], 0, v16
	v_cndmask_b32_e32 v12, v17, v12, vcc
	v_cmp_ne_u32_e32 vcc, 0, v12
	v_cndmask_b32_e64 v13, v20, v18, s[6:7]
	v_cndmask_b32_e64 v16, v21, v19, s[6:7]
	v_cndmask_b32_e32 v13, v14, v13, vcc
	v_cndmask_b32_e32 v12, v15, v16, vcc
	v_xor_b32_e32 v13, v13, v3
	v_xor_b32_e32 v12, v12, v3
	v_sub_co_u32_e32 v14, vcc, v13, v3
	v_subb_co_u32_e32 v15, vcc, v12, v3, vcc
.LBB1_17:                               ;   in Loop: Header=BB1_7 Depth=2
	s_andn2_saveexec_b64 s[6:7], s[48:49]
	s_cbranch_execz .LBB1_19
; %bb.18:                               ;   in Loop: Header=BB1_7 Depth=2
	v_cvt_f32_u32_e32 v3, s44
	s_sub_i32 s48, 0, s44
	v_mov_b32_e32 v15, v2
	v_rcp_iflag_f32_e32 v3, v3
	v_mul_f32_e32 v3, 0x4f7ffffe, v3
	v_cvt_u32_f32_e32 v3, v3
	v_mul_lo_u32 v12, s48, v3
	v_mul_hi_u32 v12, v3, v12
	v_add_u32_e32 v3, v3, v12
	v_mul_hi_u32 v3, v10, v3
	v_mul_lo_u32 v12, v3, s44
	v_add_u32_e32 v13, 1, v3
	v_sub_u32_e32 v12, v10, v12
	v_subrev_u32_e32 v14, s44, v12
	v_cmp_le_u32_e32 vcc, s44, v12
	v_cndmask_b32_e32 v12, v12, v14, vcc
	v_cndmask_b32_e32 v3, v3, v13, vcc
	v_add_u32_e32 v13, 1, v3
	v_cmp_le_u32_e32 vcc, s44, v12
	v_cndmask_b32_e32 v14, v3, v13, vcc
.LBB1_19:                               ;   in Loop: Header=BB1_7 Depth=2
	s_or_b64 exec, exec, s[6:7]
	s_load_dwordx2 s[48:49], s[8:9], 0x18
	s_load_dwordx2 s[50:51], s[8:9], 0x90
                                        ; implicit-def: $vgpr12_vgpr13
	s_waitcnt lgkmcnt(0)
	v_or_b32_e32 v3, s49, v15
	v_cmp_ne_u64_e32 vcc, 0, v[2:3]
	s_and_saveexec_b64 s[6:7], vcc
	s_xor_b64 s[52:53], exec, s[6:7]
	s_cbranch_execz .LBB1_21
; %bb.20:                               ;   in Loop: Header=BB1_7 Depth=2
	s_ashr_i32 s54, s49, 31
	s_add_u32 s6, s48, s54
	s_mov_b32 s55, s54
	s_addc_u32 s7, s49, s54
	s_xor_b64 s[56:57], s[6:7], s[54:55]
	v_cvt_f32_u32_e32 v3, s56
	v_cvt_f32_u32_e32 v12, s57
	s_sub_u32 s55, 0, s56
	s_subb_u32 s63, 0, s57
	v_mac_f32_e32 v3, 0x4f800000, v12
	v_rcp_f32_e32 v3, v3
	v_mul_f32_e32 v3, 0x5f7ffffc, v3
	v_mul_f32_e32 v12, 0x2f800000, v3
	v_trunc_f32_e32 v12, v12
	v_mac_f32_e32 v3, 0xcf800000, v12
	v_cvt_u32_f32_e32 v12, v12
	v_cvt_u32_f32_e32 v3, v3
	v_readfirstlane_b32 s64, v12
	v_readfirstlane_b32 s6, v3
	s_mul_i32 s7, s55, s64
	s_mul_hi_u32 s66, s55, s6
	s_mul_i32 s65, s63, s6
	s_add_i32 s7, s66, s7
	s_add_i32 s7, s7, s65
	s_mul_i32 s67, s55, s6
	s_mul_i32 s66, s6, s7
	s_mul_hi_u32 s68, s6, s67
	s_mul_hi_u32 s65, s6, s7
	s_add_u32 s66, s68, s66
	s_addc_u32 s65, 0, s65
	s_mul_hi_u32 s69, s64, s67
	s_mul_i32 s67, s64, s67
	s_add_u32 s66, s66, s67
	s_mul_hi_u32 s68, s64, s7
	s_addc_u32 s65, s65, s69
	s_addc_u32 s66, s68, 0
	s_mul_i32 s7, s64, s7
	s_add_u32 s7, s65, s7
	s_addc_u32 s65, 0, s66
	s_add_u32 s66, s6, s7
	s_cselect_b64 s[6:7], -1, 0
	s_cmp_lg_u64 s[6:7], 0
	s_addc_u32 s64, s64, s65
	s_mul_i32 s6, s55, s64
	s_mul_hi_u32 s7, s55, s66
	s_add_i32 s6, s7, s6
	s_mul_i32 s63, s63, s66
	s_add_i32 s6, s6, s63
	s_mul_i32 s55, s55, s66
	s_mul_hi_u32 s63, s64, s55
	s_mul_i32 s65, s64, s55
	s_mul_i32 s68, s66, s6
	s_mul_hi_u32 s55, s66, s55
	s_mul_hi_u32 s67, s66, s6
	s_add_u32 s55, s55, s68
	s_addc_u32 s67, 0, s67
	s_add_u32 s55, s55, s65
	s_mul_hi_u32 s7, s64, s6
	s_addc_u32 s55, s67, s63
	s_addc_u32 s7, s7, 0
	s_mul_i32 s6, s64, s6
	s_add_u32 s6, s55, s6
	s_addc_u32 s55, 0, s7
	s_add_u32 s63, s66, s6
	s_cselect_b64 s[6:7], -1, 0
	v_ashrrev_i32_e32 v3, 31, v15
	s_cmp_lg_u64 s[6:7], 0
	v_add_co_u32_e32 v12, vcc, v14, v3
	s_addc_u32 s55, s64, s55
	v_xor_b32_e32 v18, v12, v3
	v_mad_u64_u32 v[12:13], s[6:7], v18, s55, 0
	v_mul_hi_u32 v17, v18, s63
	v_addc_co_u32_e32 v16, vcc, v15, v3, vcc
	v_xor_b32_e32 v19, v16, v3
	v_add_co_u32_e32 v20, vcc, v17, v12
	v_addc_co_u32_e32 v21, vcc, 0, v13, vcc
	v_mad_u64_u32 v[12:13], s[6:7], v19, s63, 0
	v_mad_u64_u32 v[16:17], s[6:7], v19, s55, 0
	v_add_co_u32_e32 v12, vcc, v20, v12
	v_addc_co_u32_e32 v12, vcc, v21, v13, vcc
	v_addc_co_u32_e32 v13, vcc, 0, v17, vcc
	v_add_co_u32_e32 v16, vcc, v12, v16
	v_addc_co_u32_e32 v17, vcc, 0, v13, vcc
	v_mul_lo_u32 v20, s57, v16
	v_mul_lo_u32 v21, s56, v17
	v_mad_u64_u32 v[12:13], s[6:7], s56, v16, 0
	v_xor_b32_e32 v3, s54, v3
	v_add3_u32 v13, v13, v21, v20
	v_sub_u32_e32 v20, v19, v13
	v_mov_b32_e32 v21, s57
	v_sub_co_u32_e32 v12, vcc, v18, v12
	v_subb_co_u32_e64 v18, s[6:7], v20, v21, vcc
	v_subrev_co_u32_e64 v20, s[6:7], s56, v12
	v_subbrev_co_u32_e64 v18, s[6:7], 0, v18, s[6:7]
	v_cmp_le_u32_e64 s[6:7], s57, v18
	v_cndmask_b32_e64 v21, 0, -1, s[6:7]
	v_cmp_le_u32_e64 s[6:7], s56, v20
	v_cndmask_b32_e64 v20, 0, -1, s[6:7]
	v_cmp_eq_u32_e64 s[6:7], s57, v18
	v_cndmask_b32_e64 v18, v21, v20, s[6:7]
	v_add_co_u32_e64 v20, s[6:7], 2, v16
	v_subb_co_u32_e32 v13, vcc, v19, v13, vcc
	v_addc_co_u32_e64 v21, s[6:7], 0, v17, s[6:7]
	v_cmp_le_u32_e32 vcc, s57, v13
	v_add_co_u32_e64 v22, s[6:7], 1, v16
	v_cndmask_b32_e64 v19, 0, -1, vcc
	v_cmp_le_u32_e32 vcc, s56, v12
	v_addc_co_u32_e64 v23, s[6:7], 0, v17, s[6:7]
	v_cndmask_b32_e64 v12, 0, -1, vcc
	v_cmp_eq_u32_e32 vcc, s57, v13
	v_cmp_ne_u32_e64 s[6:7], 0, v18
	v_cndmask_b32_e32 v12, v19, v12, vcc
	v_cndmask_b32_e64 v18, v23, v21, s[6:7]
	v_cmp_ne_u32_e32 vcc, 0, v12
	v_cndmask_b32_e64 v13, v22, v20, s[6:7]
	v_cndmask_b32_e32 v12, v17, v18, vcc
	v_cndmask_b32_e32 v13, v16, v13, vcc
	v_xor_b32_e32 v16, v12, v3
	v_xor_b32_e32 v12, v13, v3
	v_sub_co_u32_e32 v12, vcc, v12, v3
	v_subb_co_u32_e32 v13, vcc, v16, v3, vcc
.LBB1_21:                               ;   in Loop: Header=BB1_7 Depth=2
	s_andn2_saveexec_b64 s[6:7], s[52:53]
	s_cbranch_execz .LBB1_23
; %bb.22:                               ;   in Loop: Header=BB1_7 Depth=2
	v_cvt_f32_u32_e32 v3, s48
	s_sub_i32 s52, 0, s48
	v_rcp_iflag_f32_e32 v3, v3
	v_mul_f32_e32 v3, 0x4f7ffffe, v3
	v_cvt_u32_f32_e32 v3, v3
	v_mul_lo_u32 v12, s52, v3
	v_mul_hi_u32 v12, v3, v12
	v_add_u32_e32 v3, v3, v12
	v_mul_hi_u32 v3, v14, v3
	v_mul_lo_u32 v12, v3, s48
	v_add_u32_e32 v13, 1, v3
	v_sub_u32_e32 v12, v14, v12
	v_subrev_u32_e32 v16, s48, v12
	v_cmp_le_u32_e32 vcc, s48, v12
	v_cndmask_b32_e32 v12, v12, v16, vcc
	v_cndmask_b32_e32 v3, v3, v13, vcc
	v_add_u32_e32 v13, 1, v3
	v_cmp_le_u32_e32 vcc, s48, v12
	v_cndmask_b32_e32 v12, v3, v13, vcc
	v_mov_b32_e32 v13, v2
.LBB1_23:                               ;   in Loop: Header=BB1_7 Depth=2
	s_or_b64 exec, exec, s[6:7]
	v_mul_lo_u32 v3, v9, s38
	v_mul_lo_u32 v18, v8, s39
	v_mad_u64_u32 v[16:17], s[6:7], v8, s38, 0
	s_add_i32 s62, s62, 4
	v_add3_u32 v3, v17, v18, v3
	v_sub_co_u32_e32 v6, vcc, v6, v16
	v_subb_co_u32_e32 v3, vcc, v7, v3, vcc
	v_mul_lo_u32 v7, s42, v3
	v_mul_lo_u32 v16, s43, v6
	v_mad_u64_u32 v[3:4], s[6:7], s42, v6, v[4:5]
	v_mul_lo_u32 v17, v11, s40
	v_mul_lo_u32 v18, v10, s41
	v_mad_u64_u32 v[5:6], s[6:7], v10, s40, 0
	v_add3_u32 v4, v16, v4, v7
	v_mul_lo_u32 v16, v14, s45
	v_add3_u32 v6, v6, v18, v17
	v_sub_co_u32_e32 v5, vcc, v8, v5
	v_subb_co_u32_e32 v6, vcc, v9, v6, vcc
	v_mad_u64_u32 v[3:4], s[6:7], s46, v5, v[3:4]
	v_mul_lo_u32 v7, s46, v6
	v_mul_lo_u32 v8, s47, v5
	;; [unrolled: 1-line block ×3, first 2 shown]
	v_mad_u64_u32 v[5:6], s[6:7], v14, s44, 0
	v_add3_u32 v4, v8, v4, v7
	v_add3_u32 v6, v6, v16, v9
	v_sub_co_u32_e32 v5, vcc, v10, v5
	v_subb_co_u32_e32 v6, vcc, v11, v6, vcc
	v_mad_u64_u32 v[3:4], s[6:7], s50, v5, v[3:4]
	v_mul_lo_u32 v7, s50, v6
	v_mul_lo_u32 v8, s51, v5
	;; [unrolled: 1-line block ×4, first 2 shown]
	v_mad_u64_u32 v[5:6], s[6:7], v12, s48, 0
	s_load_dwordx2 s[6:7], s[8:9], 0x98
	v_add3_u32 v4, v8, v4, v7
	v_add3_u32 v6, v6, v10, v9
	v_sub_co_u32_e32 v7, vcc, v14, v5
	v_subb_co_u32_e32 v6, vcc, v15, v6, vcc
	s_waitcnt lgkmcnt(0)
	v_mad_u64_u32 v[4:5], s[38:39], s6, v7, v[3:4]
	v_mul_lo_u32 v3, s6, v6
	v_mul_lo_u32 v6, s7, v7
	s_add_u32 s8, s8, 32
	s_addc_u32 s9, s9, 0
	s_cmp_lg_u32 s61, s62
	v_add3_u32 v5, v6, v5, v3
	s_cbranch_scc0 .LBB1_25
; %bb.24:                               ;   in Loop: Header=BB1_7 Depth=2
	v_mov_b32_e32 v6, v12
	v_mov_b32_e32 v7, v13
	s_branch .LBB1_7
.LBB1_25:                               ;   in Loop: Header=BB1_4 Depth=1
	s_mov_b32 s62, s61
.LBB1_26:                               ;   in Loop: Header=BB1_4 Depth=1
	s_andn2_b64 vcc, exec, s[30:31]
	s_cbranch_vccnz .LBB1_33
; %bb.27:                               ;   in Loop: Header=BB1_4 Depth=1
	s_lshl_b32 s6, s62, 3
	s_add_u32 s8, s24, s6
	s_addc_u32 s9, s25, 0
	s_mov_b32 s46, s60
	s_branch .LBB1_29
.LBB1_28:                               ;   in Loop: Header=BB1_29 Depth=2
	s_or_b64 exec, exec, s[6:7]
	v_mul_lo_u32 v3, v7, s38
	v_mul_lo_u32 v10, v6, s39
	v_mad_u64_u32 v[8:9], s[6:7], v6, s38, 0
	s_load_dwordx2 s[6:7], s[8:9], 0x80
	s_add_u32 s8, s8, 8
	v_add3_u32 v3, v9, v10, v3
	v_sub_co_u32_e32 v8, vcc, v12, v8
	v_subb_co_u32_e32 v3, vcc, v13, v3, vcc
	s_waitcnt lgkmcnt(0)
	v_mul_lo_u32 v3, s6, v3
	v_mul_lo_u32 v9, s7, v8
	v_mad_u64_u32 v[4:5], s[6:7], s6, v8, v[4:5]
	s_addc_u32 s9, s9, 0
	s_add_i32 s46, s46, -1
	v_mov_b32_e32 v13, v7
	v_add3_u32 v5, v9, v5, v3
	s_cmp_lg_u32 s46, 0
	v_mov_b32_e32 v12, v6
	s_cbranch_scc0 .LBB1_33
.LBB1_29:                               ;   Parent Loop BB1_4 Depth=1
                                        ; =>  This Inner Loop Header: Depth=2
	s_load_dwordx2 s[38:39], s[8:9], 0x0
                                        ; implicit-def: $vgpr6_vgpr7
	s_waitcnt lgkmcnt(0)
	v_or_b32_e32 v3, s39, v13
	v_cmp_ne_u64_e32 vcc, 0, v[2:3]
	s_and_saveexec_b64 s[6:7], vcc
	s_xor_b64 s[40:41], exec, s[6:7]
	s_cbranch_execz .LBB1_31
; %bb.30:                               ;   in Loop: Header=BB1_29 Depth=2
	s_ashr_i32 s42, s39, 31
	s_add_u32 s6, s38, s42
	s_mov_b32 s43, s42
	s_addc_u32 s7, s39, s42
	s_xor_b64 s[44:45], s[6:7], s[42:43]
	v_cvt_f32_u32_e32 v3, s44
	v_cvt_f32_u32_e32 v6, s45
	s_sub_u32 s43, 0, s44
	s_subb_u32 s47, 0, s45
	v_mac_f32_e32 v3, 0x4f800000, v6
	v_rcp_f32_e32 v3, v3
	v_mul_f32_e32 v3, 0x5f7ffffc, v3
	v_mul_f32_e32 v6, 0x2f800000, v3
	v_trunc_f32_e32 v6, v6
	v_mac_f32_e32 v3, 0xcf800000, v6
	v_cvt_u32_f32_e32 v6, v6
	v_cvt_u32_f32_e32 v3, v3
	v_readfirstlane_b32 s48, v6
	v_readfirstlane_b32 s6, v3
	s_mul_i32 s7, s43, s48
	s_mul_hi_u32 s50, s43, s6
	s_mul_i32 s49, s47, s6
	s_add_i32 s7, s50, s7
	s_add_i32 s7, s7, s49
	s_mul_i32 s51, s43, s6
	s_mul_i32 s50, s6, s7
	s_mul_hi_u32 s52, s6, s51
	s_mul_hi_u32 s49, s6, s7
	s_add_u32 s50, s52, s50
	s_addc_u32 s49, 0, s49
	s_mul_hi_u32 s53, s48, s51
	s_mul_i32 s51, s48, s51
	s_add_u32 s50, s50, s51
	s_mul_hi_u32 s52, s48, s7
	s_addc_u32 s49, s49, s53
	s_addc_u32 s50, s52, 0
	s_mul_i32 s7, s48, s7
	s_add_u32 s7, s49, s7
	s_addc_u32 s49, 0, s50
	s_add_u32 s50, s6, s7
	s_cselect_b64 s[6:7], -1, 0
	s_cmp_lg_u64 s[6:7], 0
	s_addc_u32 s48, s48, s49
	s_mul_i32 s6, s43, s48
	s_mul_hi_u32 s7, s43, s50
	s_add_i32 s6, s7, s6
	s_mul_i32 s47, s47, s50
	s_add_i32 s6, s6, s47
	s_mul_i32 s43, s43, s50
	s_mul_hi_u32 s47, s48, s43
	s_mul_i32 s49, s48, s43
	s_mul_i32 s52, s50, s6
	s_mul_hi_u32 s43, s50, s43
	s_mul_hi_u32 s51, s50, s6
	s_add_u32 s43, s43, s52
	s_addc_u32 s51, 0, s51
	s_add_u32 s43, s43, s49
	s_mul_hi_u32 s7, s48, s6
	s_addc_u32 s43, s51, s47
	s_addc_u32 s7, s7, 0
	s_mul_i32 s6, s48, s6
	s_add_u32 s6, s43, s6
	s_addc_u32 s43, 0, s7
	s_add_u32 s47, s50, s6
	s_cselect_b64 s[6:7], -1, 0
	v_ashrrev_i32_e32 v3, 31, v13
	s_cmp_lg_u64 s[6:7], 0
	v_add_co_u32_e32 v6, vcc, v12, v3
	s_addc_u32 s43, s48, s43
	v_xor_b32_e32 v10, v6, v3
	v_mad_u64_u32 v[6:7], s[6:7], v10, s43, 0
	v_mul_hi_u32 v9, v10, s47
	v_addc_co_u32_e32 v8, vcc, v13, v3, vcc
	v_xor_b32_e32 v11, v8, v3
	v_add_co_u32_e32 v14, vcc, v9, v6
	v_addc_co_u32_e32 v15, vcc, 0, v7, vcc
	v_mad_u64_u32 v[6:7], s[6:7], v11, s47, 0
	v_mad_u64_u32 v[8:9], s[6:7], v11, s43, 0
	v_add_co_u32_e32 v6, vcc, v14, v6
	v_addc_co_u32_e32 v6, vcc, v15, v7, vcc
	v_addc_co_u32_e32 v7, vcc, 0, v9, vcc
	v_add_co_u32_e32 v8, vcc, v6, v8
	v_addc_co_u32_e32 v9, vcc, 0, v7, vcc
	v_mul_lo_u32 v14, s45, v8
	v_mul_lo_u32 v15, s44, v9
	v_mad_u64_u32 v[6:7], s[6:7], s44, v8, 0
	v_xor_b32_e32 v3, s42, v3
	v_add3_u32 v7, v7, v15, v14
	v_sub_u32_e32 v14, v11, v7
	v_mov_b32_e32 v15, s45
	v_sub_co_u32_e32 v6, vcc, v10, v6
	v_subb_co_u32_e64 v10, s[6:7], v14, v15, vcc
	v_subrev_co_u32_e64 v14, s[6:7], s44, v6
	v_subbrev_co_u32_e64 v10, s[6:7], 0, v10, s[6:7]
	v_cmp_le_u32_e64 s[6:7], s45, v10
	v_cndmask_b32_e64 v15, 0, -1, s[6:7]
	v_cmp_le_u32_e64 s[6:7], s44, v14
	v_cndmask_b32_e64 v14, 0, -1, s[6:7]
	v_cmp_eq_u32_e64 s[6:7], s45, v10
	v_cndmask_b32_e64 v10, v15, v14, s[6:7]
	v_add_co_u32_e64 v14, s[6:7], 2, v8
	v_subb_co_u32_e32 v7, vcc, v11, v7, vcc
	v_addc_co_u32_e64 v15, s[6:7], 0, v9, s[6:7]
	v_cmp_le_u32_e32 vcc, s45, v7
	v_add_co_u32_e64 v16, s[6:7], 1, v8
	v_cndmask_b32_e64 v11, 0, -1, vcc
	v_cmp_le_u32_e32 vcc, s44, v6
	v_addc_co_u32_e64 v17, s[6:7], 0, v9, s[6:7]
	v_cndmask_b32_e64 v6, 0, -1, vcc
	v_cmp_eq_u32_e32 vcc, s45, v7
	v_cmp_ne_u32_e64 s[6:7], 0, v10
	v_cndmask_b32_e32 v6, v11, v6, vcc
	v_cndmask_b32_e64 v10, v17, v15, s[6:7]
	v_cmp_ne_u32_e32 vcc, 0, v6
	v_cndmask_b32_e64 v7, v16, v14, s[6:7]
	v_cndmask_b32_e32 v6, v9, v10, vcc
	v_cndmask_b32_e32 v7, v8, v7, vcc
	v_xor_b32_e32 v8, v6, v3
	v_xor_b32_e32 v6, v7, v3
	v_sub_co_u32_e32 v6, vcc, v6, v3
	v_subb_co_u32_e32 v7, vcc, v8, v3, vcc
.LBB1_31:                               ;   in Loop: Header=BB1_29 Depth=2
	s_andn2_saveexec_b64 s[6:7], s[40:41]
	s_cbranch_execz .LBB1_28
; %bb.32:                               ;   in Loop: Header=BB1_29 Depth=2
	v_cvt_f32_u32_e32 v3, s38
	s_sub_i32 s40, 0, s38
	v_rcp_iflag_f32_e32 v3, v3
	v_mul_f32_e32 v3, 0x4f7ffffe, v3
	v_cvt_u32_f32_e32 v3, v3
	v_mul_lo_u32 v6, s40, v3
	v_mul_hi_u32 v6, v3, v6
	v_add_u32_e32 v3, v3, v6
	v_mul_hi_u32 v3, v12, v3
	v_mul_lo_u32 v6, v3, s38
	v_add_u32_e32 v7, 1, v3
	v_sub_u32_e32 v6, v12, v6
	v_subrev_u32_e32 v8, s38, v6
	v_cmp_le_u32_e32 vcc, s38, v6
	v_cndmask_b32_e32 v6, v6, v8, vcc
	v_cndmask_b32_e32 v3, v3, v7, vcc
	v_add_u32_e32 v7, 1, v3
	v_cmp_le_u32_e32 vcc, s38, v6
	v_cndmask_b32_e32 v6, v3, v7, vcc
	v_mov_b32_e32 v7, v2
	s_branch .LBB1_28
.LBB1_33:                               ;   in Loop: Header=BB1_4 Depth=1
	s_mov_b64 s[6:7], 0
.LBB1_34:                               ;   in Loop: Header=BB1_4 Depth=1
	s_andn2_b64 vcc, exec, s[6:7]
	s_cbranch_vccnz .LBB1_45
; %bb.35:                               ;   in Loop: Header=BB1_4 Depth=1
	v_or_b32_e32 v3, s17, v1
	v_cmp_ne_u64_e32 vcc, 0, v[2:3]
                                        ; implicit-def: $vgpr6_vgpr7
	s_and_saveexec_b64 s[6:7], vcc
	s_xor_b64 s[8:9], exec, s[6:7]
	s_cbranch_execz .LBB1_37
; %bb.36:                               ;   in Loop: Header=BB1_4 Depth=1
	s_ashr_i32 s38, s17, 31
	s_add_u32 s6, s16, s38
	s_mov_b32 s39, s38
	s_addc_u32 s7, s17, s38
	s_xor_b64 s[40:41], s[6:7], s[38:39]
	v_cvt_f32_u32_e32 v3, s40
	v_cvt_f32_u32_e32 v4, s41
	s_sub_u32 s39, 0, s40
	s_subb_u32 s42, 0, s41
	v_ashrrev_i32_e32 v7, 31, v1
	v_mac_f32_e32 v3, 0x4f800000, v4
	v_rcp_f32_e32 v3, v3
	v_mul_f32_e32 v3, 0x5f7ffffc, v3
	v_mul_f32_e32 v4, 0x2f800000, v3
	v_trunc_f32_e32 v4, v4
	v_mac_f32_e32 v3, 0xcf800000, v4
	v_cvt_u32_f32_e32 v4, v4
	v_cvt_u32_f32_e32 v3, v3
	v_readfirstlane_b32 s43, v4
	v_readfirstlane_b32 s6, v3
	s_mul_i32 s7, s39, s43
	s_mul_hi_u32 s45, s39, s6
	s_mul_i32 s44, s42, s6
	s_add_i32 s7, s45, s7
	s_add_i32 s7, s7, s44
	s_mul_i32 s46, s39, s6
	s_mul_i32 s45, s6, s7
	s_mul_hi_u32 s47, s6, s46
	s_mul_hi_u32 s44, s6, s7
	s_add_u32 s45, s47, s45
	s_addc_u32 s44, 0, s44
	s_mul_hi_u32 s48, s43, s46
	s_mul_i32 s46, s43, s46
	s_add_u32 s45, s45, s46
	s_mul_hi_u32 s47, s43, s7
	s_addc_u32 s44, s44, s48
	s_addc_u32 s45, s47, 0
	s_mul_i32 s7, s43, s7
	s_add_u32 s7, s44, s7
	s_addc_u32 s44, 0, s45
	s_add_u32 s45, s6, s7
	s_cselect_b64 s[6:7], -1, 0
	s_cmp_lg_u64 s[6:7], 0
	s_addc_u32 s43, s43, s44
	s_mul_i32 s6, s39, s43
	s_mul_hi_u32 s7, s39, s45
	s_add_i32 s6, s7, s6
	s_mul_i32 s42, s42, s45
	s_add_i32 s6, s6, s42
	s_mul_i32 s39, s39, s45
	s_mul_hi_u32 s42, s43, s39
	s_mul_i32 s44, s43, s39
	s_mul_i32 s47, s45, s6
	s_mul_hi_u32 s39, s45, s39
	s_mul_hi_u32 s46, s45, s6
	s_add_u32 s39, s39, s47
	s_addc_u32 s46, 0, s46
	s_add_u32 s39, s39, s44
	s_mul_hi_u32 s7, s43, s6
	s_addc_u32 s39, s46, s42
	s_addc_u32 s7, s7, 0
	s_mul_i32 s6, s43, s6
	s_add_u32 s6, s39, s6
	s_addc_u32 s39, 0, s7
	s_add_u32 s42, s45, s6
	s_cselect_b64 s[6:7], -1, 0
	s_cmp_lg_u64 s[6:7], 0
	v_add_co_u32_e32 v3, vcc, v0, v7
	s_addc_u32 s39, s43, s39
	v_xor_b32_e32 v8, v3, v7
	v_mad_u64_u32 v[3:4], s[6:7], v8, s39, 0
	v_mul_hi_u32 v6, v8, s42
	v_addc_co_u32_e32 v5, vcc, v1, v7, vcc
	v_xor_b32_e32 v9, v5, v7
	v_add_co_u32_e32 v10, vcc, v6, v3
	v_addc_co_u32_e32 v11, vcc, 0, v4, vcc
	v_mad_u64_u32 v[3:4], s[6:7], v9, s42, 0
	v_mad_u64_u32 v[5:6], s[6:7], v9, s39, 0
	v_add_co_u32_e32 v3, vcc, v10, v3
	v_addc_co_u32_e32 v3, vcc, v11, v4, vcc
	v_addc_co_u32_e32 v4, vcc, 0, v6, vcc
	v_add_co_u32_e32 v5, vcc, v3, v5
	v_addc_co_u32_e32 v6, vcc, 0, v4, vcc
	v_mul_lo_u32 v10, s41, v5
	v_mul_lo_u32 v11, s40, v6
	v_mad_u64_u32 v[3:4], s[6:7], s40, v5, 0
	v_add3_u32 v4, v4, v11, v10
	v_sub_u32_e32 v10, v9, v4
	v_mov_b32_e32 v11, s41
	v_sub_co_u32_e32 v3, vcc, v8, v3
	v_subb_co_u32_e64 v8, s[6:7], v10, v11, vcc
	v_subrev_co_u32_e64 v10, s[6:7], s40, v3
	v_subbrev_co_u32_e64 v8, s[6:7], 0, v8, s[6:7]
	v_cmp_le_u32_e64 s[6:7], s41, v8
	v_cndmask_b32_e64 v11, 0, -1, s[6:7]
	v_cmp_le_u32_e64 s[6:7], s40, v10
	v_cndmask_b32_e64 v10, 0, -1, s[6:7]
	v_cmp_eq_u32_e64 s[6:7], s41, v8
	v_cndmask_b32_e64 v8, v11, v10, s[6:7]
	v_add_co_u32_e64 v10, s[6:7], 2, v5
	v_subb_co_u32_e32 v4, vcc, v9, v4, vcc
	v_addc_co_u32_e64 v11, s[6:7], 0, v6, s[6:7]
	v_cmp_le_u32_e32 vcc, s41, v4
	v_add_co_u32_e64 v12, s[6:7], 1, v5
	v_cndmask_b32_e64 v9, 0, -1, vcc
	v_cmp_le_u32_e32 vcc, s40, v3
	v_addc_co_u32_e64 v13, s[6:7], 0, v6, s[6:7]
	v_cndmask_b32_e64 v3, 0, -1, vcc
	v_cmp_eq_u32_e32 vcc, s41, v4
	v_cmp_ne_u32_e64 s[6:7], 0, v8
	v_cndmask_b32_e32 v3, v9, v3, vcc
	v_cmp_ne_u32_e32 vcc, 0, v3
	v_cndmask_b32_e64 v4, v12, v10, s[6:7]
	v_cndmask_b32_e64 v8, v13, v11, s[6:7]
	v_cndmask_b32_e32 v4, v5, v4, vcc
	v_xor_b32_e32 v5, s38, v7
	v_cndmask_b32_e32 v3, v6, v8, vcc
	v_xor_b32_e32 v4, v4, v5
	v_xor_b32_e32 v3, v3, v5
	v_sub_co_u32_e32 v6, vcc, v4, v5
	v_subb_co_u32_e32 v7, vcc, v3, v5, vcc
.LBB1_37:                               ;   in Loop: Header=BB1_4 Depth=1
	s_andn2_saveexec_b64 s[6:7], s[8:9]
	s_cbranch_execz .LBB1_39
; %bb.38:                               ;   in Loop: Header=BB1_4 Depth=1
	v_cvt_f32_u32_e32 v3, s16
	s_sub_i32 s8, 0, s16
	v_mov_b32_e32 v7, v2
	v_rcp_iflag_f32_e32 v3, v3
	v_mul_f32_e32 v3, 0x4f7ffffe, v3
	v_cvt_u32_f32_e32 v3, v3
	v_mul_lo_u32 v4, s8, v3
	v_mul_hi_u32 v4, v3, v4
	v_add_u32_e32 v3, v3, v4
	v_mul_hi_u32 v3, v0, v3
	v_mul_lo_u32 v4, v3, s16
	v_add_u32_e32 v5, 1, v3
	v_sub_u32_e32 v4, v0, v4
	v_subrev_u32_e32 v6, s16, v4
	v_cmp_le_u32_e32 vcc, s16, v4
	v_cndmask_b32_e32 v4, v4, v6, vcc
	v_cndmask_b32_e32 v3, v3, v5, vcc
	v_add_u32_e32 v5, 1, v3
	v_cmp_le_u32_e32 vcc, s16, v4
	v_cndmask_b32_e32 v6, v3, v5, vcc
.LBB1_39:                               ;   in Loop: Header=BB1_4 Depth=1
	s_or_b64 exec, exec, s[6:7]
	v_mul_lo_u32 v5, v7, s16
	v_mul_lo_u32 v8, v6, s17
	v_mad_u64_u32 v[3:4], s[6:7], v6, s16, 0
	v_add3_u32 v4, v4, v8, v5
	v_sub_co_u32_e32 v3, vcc, v0, v3
	v_subb_co_u32_e32 v4, vcc, v1, v4, vcc
	v_mul_lo_u32 v8, s21, v3
	v_mul_lo_u32 v9, s20, v4
	v_mad_u64_u32 v[4:5], s[6:7], s20, v3, 0
	s_andn2_b64 vcc, exec, s[26:27]
	v_add3_u32 v5, v5, v9, v8
	s_cbranch_vccnz .LBB1_45
; %bb.40:                               ;   in Loop: Header=BB1_4 Depth=1
	v_or_b32_e32 v3, s19, v7
	v_cmp_ne_u64_e32 vcc, 0, v[2:3]
                                        ; implicit-def: $vgpr8_vgpr9
	s_and_saveexec_b64 s[6:7], vcc
	s_xor_b64 s[38:39], exec, s[6:7]
	s_cbranch_execz .LBB1_42
; %bb.41:                               ;   in Loop: Header=BB1_4 Depth=1
	s_ashr_i32 s6, s19, 31
	s_add_u32 s8, s18, s6
	s_mov_b32 s7, s6
	s_addc_u32 s9, s19, s6
	s_xor_b64 s[40:41], s[8:9], s[6:7]
	v_cvt_f32_u32_e32 v3, s40
	v_cvt_f32_u32_e32 v8, s41
	s_sub_u32 s8, 0, s40
	s_subb_u32 s9, 0, s41
	v_mac_f32_e32 v3, 0x4f800000, v8
	v_rcp_f32_e32 v3, v3
	v_mul_f32_e32 v3, 0x5f7ffffc, v3
	v_mul_f32_e32 v8, 0x2f800000, v3
	v_trunc_f32_e32 v8, v8
	v_mac_f32_e32 v3, 0xcf800000, v8
	v_cvt_u32_f32_e32 v8, v8
	v_cvt_u32_f32_e32 v3, v3
	v_readfirstlane_b32 s42, v8
	v_readfirstlane_b32 s6, v3
	s_mul_i32 s7, s8, s42
	s_mul_hi_u32 s44, s8, s6
	s_mul_i32 s43, s9, s6
	s_add_i32 s7, s44, s7
	s_add_i32 s7, s7, s43
	s_mul_i32 s45, s8, s6
	s_mul_i32 s44, s6, s7
	s_mul_hi_u32 s46, s6, s45
	s_mul_hi_u32 s43, s6, s7
	s_add_u32 s44, s46, s44
	s_addc_u32 s43, 0, s43
	s_mul_hi_u32 s47, s42, s45
	s_mul_i32 s45, s42, s45
	s_add_u32 s44, s44, s45
	s_mul_hi_u32 s46, s42, s7
	s_addc_u32 s43, s43, s47
	s_addc_u32 s44, s46, 0
	s_mul_i32 s7, s42, s7
	s_add_u32 s7, s43, s7
	s_addc_u32 s43, 0, s44
	s_add_u32 s44, s6, s7
	s_cselect_b64 s[6:7], -1, 0
	s_cmp_lg_u64 s[6:7], 0
	s_addc_u32 s42, s42, s43
	s_mul_i32 s6, s8, s42
	s_mul_hi_u32 s7, s8, s44
	s_add_i32 s6, s7, s6
	s_mul_i32 s9, s9, s44
	s_add_i32 s6, s6, s9
	s_mul_i32 s8, s8, s44
	s_mul_hi_u32 s9, s42, s8
	s_mul_i32 s43, s42, s8
	s_mul_i32 s46, s44, s6
	s_mul_hi_u32 s8, s44, s8
	s_mul_hi_u32 s45, s44, s6
	s_add_u32 s8, s8, s46
	s_addc_u32 s45, 0, s45
	s_add_u32 s8, s8, s43
	s_mul_hi_u32 s7, s42, s6
	s_addc_u32 s8, s45, s9
	s_addc_u32 s7, s7, 0
	s_mul_i32 s6, s42, s6
	s_add_u32 s6, s8, s6
	s_addc_u32 s8, 0, s7
	s_add_u32 s9, s44, s6
	s_cselect_b64 s[6:7], -1, 0
	v_ashrrev_i32_e32 v3, 31, v7
	s_cmp_lg_u64 s[6:7], 0
	v_add_co_u32_e32 v6, vcc, v6, v3
	s_addc_u32 s8, s42, s8
	v_xor_b32_e32 v10, v6, v3
	v_addc_co_u32_e32 v8, vcc, v7, v3, vcc
	v_mad_u64_u32 v[6:7], s[6:7], v10, s8, 0
	v_mul_hi_u32 v9, v10, s9
	v_xor_b32_e32 v11, v8, v3
	v_add_co_u32_e32 v12, vcc, v9, v6
	v_addc_co_u32_e32 v13, vcc, 0, v7, vcc
	v_mad_u64_u32 v[6:7], s[6:7], v11, s9, 0
	v_mad_u64_u32 v[8:9], s[6:7], v11, s8, 0
	v_add_co_u32_e32 v6, vcc, v12, v6
	v_addc_co_u32_e32 v6, vcc, v13, v7, vcc
	v_addc_co_u32_e32 v7, vcc, 0, v9, vcc
	v_add_co_u32_e32 v6, vcc, v6, v8
	v_addc_co_u32_e32 v7, vcc, 0, v7, vcc
	v_mul_lo_u32 v8, s41, v6
	v_mul_lo_u32 v9, s40, v7
	v_mad_u64_u32 v[6:7], s[6:7], s40, v6, 0
	v_add3_u32 v7, v7, v9, v8
	v_sub_u32_e32 v8, v11, v7
	v_mov_b32_e32 v9, s41
	v_sub_co_u32_e32 v6, vcc, v10, v6
	v_subb_co_u32_e64 v8, s[6:7], v8, v9, vcc
	v_subrev_co_u32_e64 v10, s[6:7], s40, v6
	v_subbrev_co_u32_e64 v12, s[8:9], 0, v8, s[6:7]
	v_cmp_le_u32_e64 s[8:9], s41, v12
	v_cndmask_b32_e64 v13, 0, -1, s[8:9]
	v_cmp_le_u32_e64 s[8:9], s40, v10
	v_subb_co_u32_e64 v8, s[6:7], v8, v9, s[6:7]
	v_cndmask_b32_e64 v14, 0, -1, s[8:9]
	v_cmp_eq_u32_e64 s[8:9], s41, v12
	v_subrev_co_u32_e64 v9, s[6:7], s40, v10
	v_subb_co_u32_e32 v7, vcc, v11, v7, vcc
	v_cndmask_b32_e64 v13, v13, v14, s[8:9]
	v_subbrev_co_u32_e64 v8, s[6:7], 0, v8, s[6:7]
	v_cmp_le_u32_e32 vcc, s41, v7
	v_cmp_ne_u32_e64 s[6:7], 0, v13
	v_cndmask_b32_e64 v11, 0, -1, vcc
	v_cmp_le_u32_e32 vcc, s40, v6
	v_cndmask_b32_e64 v8, v12, v8, s[6:7]
	v_cndmask_b32_e64 v12, 0, -1, vcc
	v_cmp_eq_u32_e32 vcc, s41, v7
	v_cndmask_b32_e32 v11, v11, v12, vcc
	v_cmp_ne_u32_e32 vcc, 0, v11
	v_cndmask_b32_e32 v7, v7, v8, vcc
	v_cndmask_b32_e64 v8, v10, v9, s[6:7]
	v_cndmask_b32_e32 v6, v6, v8, vcc
	v_xor_b32_e32 v6, v6, v3
	v_xor_b32_e32 v7, v7, v3
	v_sub_co_u32_e32 v8, vcc, v6, v3
	v_subb_co_u32_e32 v9, vcc, v7, v3, vcc
                                        ; implicit-def: $vgpr6_vgpr7
.LBB1_42:                               ;   in Loop: Header=BB1_4 Depth=1
	s_andn2_saveexec_b64 s[6:7], s[38:39]
	s_cbranch_execz .LBB1_44
; %bb.43:                               ;   in Loop: Header=BB1_4 Depth=1
	v_cvt_f32_u32_e32 v3, s18
	s_sub_i32 s8, 0, s18
	v_mov_b32_e32 v9, v2
	v_rcp_iflag_f32_e32 v3, v3
	v_mul_f32_e32 v3, 0x4f7ffffe, v3
	v_cvt_u32_f32_e32 v3, v3
	v_mul_lo_u32 v7, s8, v3
	v_mul_hi_u32 v7, v3, v7
	v_add_u32_e32 v3, v3, v7
	v_mul_hi_u32 v3, v6, v3
	v_mul_lo_u32 v3, v3, s18
	v_sub_u32_e32 v3, v6, v3
	v_subrev_u32_e32 v6, s18, v3
	v_cmp_le_u32_e32 vcc, s18, v3
	v_cndmask_b32_e32 v3, v3, v6, vcc
	v_subrev_u32_e32 v6, s18, v3
	v_cmp_le_u32_e32 vcc, s18, v3
	v_cndmask_b32_e32 v8, v3, v6, vcc
.LBB1_44:                               ;   in Loop: Header=BB1_4 Depth=1
	s_or_b64 exec, exec, s[6:7]
	v_mad_u64_u32 v[4:5], s[6:7], s22, v8, v[4:5]
	v_mul_lo_u32 v3, s22, v9
	v_mul_lo_u32 v6, s23, v8
	v_add3_u32 v5, v6, v5, v3
.LBB1_45:                               ;   in Loop: Header=BB1_4 Depth=1
	s_andn2_b64 vcc, exec, s[28:29]
	s_cbranch_vccnz .LBB1_2
; %bb.46:                               ;   in Loop: Header=BB1_4 Depth=1
	v_mov_b32_e32 v6, 0
	v_mov_b32_e32 v9, v1
	s_mov_b32 s46, 0
	v_mov_b32_e32 v7, 0
	s_mov_b64 s[8:9], s[34:35]
	v_mov_b32_e32 v8, v0
.LBB1_47:                               ;   Parent Loop BB1_4 Depth=1
                                        ; =>  This Inner Loop Header: Depth=2
	s_load_dwordx2 s[38:39], s[8:9], 0x0
                                        ; implicit-def: $vgpr10_vgpr11
	s_waitcnt lgkmcnt(0)
	v_or_b32_e32 v3, s39, v9
	v_cmp_ne_u64_e32 vcc, 0, v[2:3]
	s_and_saveexec_b64 s[6:7], vcc
	s_xor_b64 s[40:41], exec, s[6:7]
	s_cbranch_execz .LBB1_49
; %bb.48:                               ;   in Loop: Header=BB1_47 Depth=2
	s_ashr_i32 s42, s39, 31
	s_add_u32 s6, s38, s42
	s_mov_b32 s43, s42
	s_addc_u32 s7, s39, s42
	s_xor_b64 s[44:45], s[6:7], s[42:43]
	v_cvt_f32_u32_e32 v3, s44
	v_cvt_f32_u32_e32 v10, s45
	s_sub_u32 s43, 0, s44
	s_subb_u32 s47, 0, s45
	v_mac_f32_e32 v3, 0x4f800000, v10
	v_rcp_f32_e32 v3, v3
	v_mul_f32_e32 v3, 0x5f7ffffc, v3
	v_mul_f32_e32 v10, 0x2f800000, v3
	v_trunc_f32_e32 v10, v10
	v_mac_f32_e32 v3, 0xcf800000, v10
	v_cvt_u32_f32_e32 v10, v10
	v_cvt_u32_f32_e32 v3, v3
	v_readfirstlane_b32 s48, v10
	v_readfirstlane_b32 s6, v3
	s_mul_i32 s7, s43, s48
	s_mul_hi_u32 s50, s43, s6
	s_mul_i32 s49, s47, s6
	s_add_i32 s7, s50, s7
	s_add_i32 s7, s7, s49
	s_mul_i32 s51, s43, s6
	s_mul_i32 s50, s6, s7
	s_mul_hi_u32 s52, s6, s51
	s_mul_hi_u32 s49, s6, s7
	s_add_u32 s50, s52, s50
	s_addc_u32 s49, 0, s49
	s_mul_hi_u32 s53, s48, s51
	s_mul_i32 s51, s48, s51
	s_add_u32 s50, s50, s51
	s_mul_hi_u32 s52, s48, s7
	s_addc_u32 s49, s49, s53
	s_addc_u32 s50, s52, 0
	s_mul_i32 s7, s48, s7
	s_add_u32 s7, s49, s7
	s_addc_u32 s49, 0, s50
	s_add_u32 s50, s6, s7
	s_cselect_b64 s[6:7], -1, 0
	s_cmp_lg_u64 s[6:7], 0
	s_addc_u32 s48, s48, s49
	s_mul_i32 s6, s43, s48
	s_mul_hi_u32 s7, s43, s50
	s_add_i32 s6, s7, s6
	s_mul_i32 s47, s47, s50
	s_add_i32 s6, s6, s47
	s_mul_i32 s43, s43, s50
	s_mul_hi_u32 s47, s48, s43
	s_mul_i32 s49, s48, s43
	s_mul_i32 s52, s50, s6
	s_mul_hi_u32 s43, s50, s43
	s_mul_hi_u32 s51, s50, s6
	s_add_u32 s43, s43, s52
	s_addc_u32 s51, 0, s51
	s_add_u32 s43, s43, s49
	s_mul_hi_u32 s7, s48, s6
	s_addc_u32 s43, s51, s47
	s_addc_u32 s7, s7, 0
	s_mul_i32 s6, s48, s6
	s_add_u32 s6, s43, s6
	s_addc_u32 s43, 0, s7
	s_add_u32 s47, s50, s6
	s_cselect_b64 s[6:7], -1, 0
	v_ashrrev_i32_e32 v3, 31, v9
	s_cmp_lg_u64 s[6:7], 0
	v_add_co_u32_e32 v10, vcc, v8, v3
	s_addc_u32 s43, s48, s43
	v_xor_b32_e32 v14, v10, v3
	v_mad_u64_u32 v[10:11], s[6:7], v14, s43, 0
	v_mul_hi_u32 v13, v14, s47
	v_addc_co_u32_e32 v12, vcc, v9, v3, vcc
	v_xor_b32_e32 v15, v12, v3
	v_add_co_u32_e32 v16, vcc, v13, v10
	v_addc_co_u32_e32 v17, vcc, 0, v11, vcc
	v_mad_u64_u32 v[10:11], s[6:7], v15, s47, 0
	v_mad_u64_u32 v[12:13], s[6:7], v15, s43, 0
	v_add_co_u32_e32 v10, vcc, v16, v10
	v_addc_co_u32_e32 v10, vcc, v17, v11, vcc
	v_addc_co_u32_e32 v11, vcc, 0, v13, vcc
	v_add_co_u32_e32 v12, vcc, v10, v12
	v_addc_co_u32_e32 v13, vcc, 0, v11, vcc
	v_mul_lo_u32 v16, s45, v12
	v_mul_lo_u32 v17, s44, v13
	v_mad_u64_u32 v[10:11], s[6:7], s44, v12, 0
	v_xor_b32_e32 v3, s42, v3
	v_add3_u32 v11, v11, v17, v16
	v_sub_u32_e32 v16, v15, v11
	v_mov_b32_e32 v17, s45
	v_sub_co_u32_e32 v10, vcc, v14, v10
	v_subb_co_u32_e64 v14, s[6:7], v16, v17, vcc
	v_subrev_co_u32_e64 v16, s[6:7], s44, v10
	v_subbrev_co_u32_e64 v14, s[6:7], 0, v14, s[6:7]
	v_cmp_le_u32_e64 s[6:7], s45, v14
	v_cndmask_b32_e64 v17, 0, -1, s[6:7]
	v_cmp_le_u32_e64 s[6:7], s44, v16
	v_cndmask_b32_e64 v16, 0, -1, s[6:7]
	v_cmp_eq_u32_e64 s[6:7], s45, v14
	v_cndmask_b32_e64 v14, v17, v16, s[6:7]
	v_add_co_u32_e64 v16, s[6:7], 2, v12
	v_subb_co_u32_e32 v11, vcc, v15, v11, vcc
	v_addc_co_u32_e64 v17, s[6:7], 0, v13, s[6:7]
	v_cmp_le_u32_e32 vcc, s45, v11
	v_add_co_u32_e64 v18, s[6:7], 1, v12
	v_cndmask_b32_e64 v15, 0, -1, vcc
	v_cmp_le_u32_e32 vcc, s44, v10
	v_addc_co_u32_e64 v19, s[6:7], 0, v13, s[6:7]
	v_cndmask_b32_e64 v10, 0, -1, vcc
	v_cmp_eq_u32_e32 vcc, s45, v11
	v_cmp_ne_u32_e64 s[6:7], 0, v14
	v_cndmask_b32_e32 v10, v15, v10, vcc
	v_cndmask_b32_e64 v14, v19, v17, s[6:7]
	v_cmp_ne_u32_e32 vcc, 0, v10
	v_cndmask_b32_e64 v11, v18, v16, s[6:7]
	v_cndmask_b32_e32 v10, v13, v14, vcc
	v_cndmask_b32_e32 v11, v12, v11, vcc
	v_xor_b32_e32 v12, v10, v3
	v_xor_b32_e32 v10, v11, v3
	v_sub_co_u32_e32 v10, vcc, v10, v3
	v_subb_co_u32_e32 v11, vcc, v12, v3, vcc
.LBB1_49:                               ;   in Loop: Header=BB1_47 Depth=2
	s_andn2_saveexec_b64 s[6:7], s[40:41]
	s_cbranch_execz .LBB1_51
; %bb.50:                               ;   in Loop: Header=BB1_47 Depth=2
	v_cvt_f32_u32_e32 v3, s38
	s_sub_i32 s40, 0, s38
	v_rcp_iflag_f32_e32 v3, v3
	v_mul_f32_e32 v3, 0x4f7ffffe, v3
	v_cvt_u32_f32_e32 v3, v3
	v_mul_lo_u32 v10, s40, v3
	v_mul_hi_u32 v10, v3, v10
	v_add_u32_e32 v3, v3, v10
	v_mul_hi_u32 v3, v8, v3
	v_mul_lo_u32 v10, v3, s38
	v_add_u32_e32 v11, 1, v3
	v_sub_u32_e32 v10, v8, v10
	v_subrev_u32_e32 v12, s38, v10
	v_cmp_le_u32_e32 vcc, s38, v10
	v_cndmask_b32_e32 v10, v10, v12, vcc
	v_cndmask_b32_e32 v3, v3, v11, vcc
	v_add_u32_e32 v11, 1, v3
	v_cmp_le_u32_e32 vcc, s38, v10
	v_cndmask_b32_e32 v10, v3, v11, vcc
	v_mov_b32_e32 v11, v2
.LBB1_51:                               ;   in Loop: Header=BB1_47 Depth=2
	s_or_b64 exec, exec, s[6:7]
	v_mul_lo_u32 v3, v11, s38
	v_mul_lo_u32 v14, v10, s39
	v_mad_u64_u32 v[12:13], s[6:7], v10, s38, 0
	s_lshr_b32 s6, s58, s46
	s_bitcmp0_b32 s6, 0
	v_add3_u32 v3, v13, v14, v3
	v_sub_co_u32_e32 v8, vcc, v8, v12
	v_subb_co_u32_e32 v9, vcc, v9, v3, vcc
	s_cbranch_scc1 .LBB1_58
; %bb.52:                               ;   in Loop: Header=BB1_47 Depth=2
	v_cmp_ne_u64_e32 vcc, 0, v[8:9]
	s_mov_b64 s[6:7], 0
	s_and_saveexec_b64 s[40:41], vcc
; %bb.53:                               ;   in Loop: Header=BB1_47 Depth=2
	v_mov_b32_e32 v3, s39
	v_sub_co_u32_e32 v8, vcc, s38, v8
	s_mov_b64 s[6:7], exec
	v_subb_co_u32_e32 v9, vcc, v3, v9, vcc
; %bb.54:                               ;   in Loop: Header=BB1_47 Depth=2
	s_or_b64 exec, exec, s[40:41]
	s_and_saveexec_b64 s[38:39], s[6:7]
	s_cbranch_execz .LBB1_56
.LBB1_55:                               ;   in Loop: Header=BB1_47 Depth=2
	s_load_dwordx2 s[6:7], s[8:9], 0x80
	s_waitcnt lgkmcnt(0)
	v_mad_u64_u32 v[6:7], s[40:41], s6, v8, v[6:7]
	v_mul_lo_u32 v3, s6, v9
	v_mul_lo_u32 v8, s7, v8
	v_add3_u32 v7, v8, v7, v3
.LBB1_56:                               ;   in Loop: Header=BB1_47 Depth=2
	s_or_b64 exec, exec, s[38:39]
	s_add_i32 s46, s46, 1
	s_add_u32 s8, s8, 8
	s_addc_u32 s9, s9, 0
	s_cmp_lg_u32 s33, s46
	s_cbranch_scc0 .LBB1_3
; %bb.57:                               ;   in Loop: Header=BB1_47 Depth=2
	v_mov_b32_e32 v8, v10
	v_mov_b32_e32 v9, v11
	s_branch .LBB1_47
.LBB1_58:                               ;   in Loop: Header=BB1_47 Depth=2
	s_mov_b64 s[6:7], -1
	s_and_saveexec_b64 s[38:39], s[6:7]
	s_cbranch_execnz .LBB1_55
	s_branch .LBB1_56
.LBB1_59:
	s_endpgm
	.section	.rodata,"a",@progbits
	.p2align	6, 0x0
	.amdhsa_kernel _ZN2at6native26_fft_conjugate_copy_kernelIN3c107complexIfEE16OffsetCalculatorILi1ElLb0EENS0_33HermitianSymmetryOffsetCalculatorIlEEEEvlPT_PKS9_T0_T1_
		.amdhsa_group_segment_fixed_size 0
		.amdhsa_private_segment_fixed_size 0
		.amdhsa_kernarg_size 816
		.amdhsa_user_sgpr_count 6
		.amdhsa_user_sgpr_private_segment_buffer 1
		.amdhsa_user_sgpr_dispatch_ptr 0
		.amdhsa_user_sgpr_queue_ptr 0
		.amdhsa_user_sgpr_kernarg_segment_ptr 1
		.amdhsa_user_sgpr_dispatch_id 0
		.amdhsa_user_sgpr_flat_scratch_init 0
		.amdhsa_user_sgpr_private_segment_size 0
		.amdhsa_uses_dynamic_stack 0
		.amdhsa_system_sgpr_private_segment_wavefront_offset 0
		.amdhsa_system_sgpr_workgroup_id_x 1
		.amdhsa_system_sgpr_workgroup_id_y 0
		.amdhsa_system_sgpr_workgroup_id_z 0
		.amdhsa_system_sgpr_workgroup_info 0
		.amdhsa_system_vgpr_workitem_id 0
		.amdhsa_next_free_vgpr 24
		.amdhsa_next_free_sgpr 70
		.amdhsa_reserve_vcc 1
		.amdhsa_reserve_flat_scratch 0
		.amdhsa_float_round_mode_32 0
		.amdhsa_float_round_mode_16_64 0
		.amdhsa_float_denorm_mode_32 3
		.amdhsa_float_denorm_mode_16_64 3
		.amdhsa_dx10_clamp 1
		.amdhsa_ieee_mode 1
		.amdhsa_fp16_overflow 0
		.amdhsa_exception_fp_ieee_invalid_op 0
		.amdhsa_exception_fp_denorm_src 0
		.amdhsa_exception_fp_ieee_div_zero 0
		.amdhsa_exception_fp_ieee_overflow 0
		.amdhsa_exception_fp_ieee_underflow 0
		.amdhsa_exception_fp_ieee_inexact 0
		.amdhsa_exception_int_div_zero 0
	.end_amdhsa_kernel
	.section	.text._ZN2at6native26_fft_conjugate_copy_kernelIN3c107complexIfEE16OffsetCalculatorILi1ElLb0EENS0_33HermitianSymmetryOffsetCalculatorIlEEEEvlPT_PKS9_T0_T1_,"axG",@progbits,_ZN2at6native26_fft_conjugate_copy_kernelIN3c107complexIfEE16OffsetCalculatorILi1ElLb0EENS0_33HermitianSymmetryOffsetCalculatorIlEEEEvlPT_PKS9_T0_T1_,comdat
.Lfunc_end1:
	.size	_ZN2at6native26_fft_conjugate_copy_kernelIN3c107complexIfEE16OffsetCalculatorILi1ElLb0EENS0_33HermitianSymmetryOffsetCalculatorIlEEEEvlPT_PKS9_T0_T1_, .Lfunc_end1-_ZN2at6native26_fft_conjugate_copy_kernelIN3c107complexIfEE16OffsetCalculatorILi1ElLb0EENS0_33HermitianSymmetryOffsetCalculatorIlEEEEvlPT_PKS9_T0_T1_
                                        ; -- End function
	.set _ZN2at6native26_fft_conjugate_copy_kernelIN3c107complexIfEE16OffsetCalculatorILi1ElLb0EENS0_33HermitianSymmetryOffsetCalculatorIlEEEEvlPT_PKS9_T0_T1_.num_vgpr, 24
	.set _ZN2at6native26_fft_conjugate_copy_kernelIN3c107complexIfEE16OffsetCalculatorILi1ElLb0EENS0_33HermitianSymmetryOffsetCalculatorIlEEEEvlPT_PKS9_T0_T1_.num_agpr, 0
	.set _ZN2at6native26_fft_conjugate_copy_kernelIN3c107complexIfEE16OffsetCalculatorILi1ElLb0EENS0_33HermitianSymmetryOffsetCalculatorIlEEEEvlPT_PKS9_T0_T1_.numbered_sgpr, 70
	.set _ZN2at6native26_fft_conjugate_copy_kernelIN3c107complexIfEE16OffsetCalculatorILi1ElLb0EENS0_33HermitianSymmetryOffsetCalculatorIlEEEEvlPT_PKS9_T0_T1_.num_named_barrier, 0
	.set _ZN2at6native26_fft_conjugate_copy_kernelIN3c107complexIfEE16OffsetCalculatorILi1ElLb0EENS0_33HermitianSymmetryOffsetCalculatorIlEEEEvlPT_PKS9_T0_T1_.private_seg_size, 0
	.set _ZN2at6native26_fft_conjugate_copy_kernelIN3c107complexIfEE16OffsetCalculatorILi1ElLb0EENS0_33HermitianSymmetryOffsetCalculatorIlEEEEvlPT_PKS9_T0_T1_.uses_vcc, 1
	.set _ZN2at6native26_fft_conjugate_copy_kernelIN3c107complexIfEE16OffsetCalculatorILi1ElLb0EENS0_33HermitianSymmetryOffsetCalculatorIlEEEEvlPT_PKS9_T0_T1_.uses_flat_scratch, 0
	.set _ZN2at6native26_fft_conjugate_copy_kernelIN3c107complexIfEE16OffsetCalculatorILi1ElLb0EENS0_33HermitianSymmetryOffsetCalculatorIlEEEEvlPT_PKS9_T0_T1_.has_dyn_sized_stack, 0
	.set _ZN2at6native26_fft_conjugate_copy_kernelIN3c107complexIfEE16OffsetCalculatorILi1ElLb0EENS0_33HermitianSymmetryOffsetCalculatorIlEEEEvlPT_PKS9_T0_T1_.has_recursion, 0
	.set _ZN2at6native26_fft_conjugate_copy_kernelIN3c107complexIfEE16OffsetCalculatorILi1ElLb0EENS0_33HermitianSymmetryOffsetCalculatorIlEEEEvlPT_PKS9_T0_T1_.has_indirect_call, 0
	.section	.AMDGPU.csdata,"",@progbits
; Kernel info:
; codeLenInByte = 7232
; TotalNumSgprs: 74
; NumVgprs: 24
; ScratchSize: 0
; MemoryBound: 0
; FloatMode: 240
; IeeeMode: 1
; LDSByteSize: 0 bytes/workgroup (compile time only)
; SGPRBlocks: 9
; VGPRBlocks: 5
; NumSGPRsForWavesPerEU: 74
; NumVGPRsForWavesPerEU: 24
; Occupancy: 10
; WaveLimiterHint : 1
; COMPUTE_PGM_RSRC2:SCRATCH_EN: 0
; COMPUTE_PGM_RSRC2:USER_SGPR: 6
; COMPUTE_PGM_RSRC2:TRAP_HANDLER: 0
; COMPUTE_PGM_RSRC2:TGID_X_EN: 1
; COMPUTE_PGM_RSRC2:TGID_Y_EN: 0
; COMPUTE_PGM_RSRC2:TGID_Z_EN: 0
; COMPUTE_PGM_RSRC2:TIDIG_COMP_CNT: 0
	.section	.text._ZN2at6native26_fft_conjugate_copy_kernelIN3c107complexINS2_4HalfEEE16OffsetCalculatorILi1ElLb0EENS0_33HermitianSymmetryOffsetCalculatorIlEEEEvlPT_PKSA_T0_T1_,"axG",@progbits,_ZN2at6native26_fft_conjugate_copy_kernelIN3c107complexINS2_4HalfEEE16OffsetCalculatorILi1ElLb0EENS0_33HermitianSymmetryOffsetCalculatorIlEEEEvlPT_PKSA_T0_T1_,comdat
	.protected	_ZN2at6native26_fft_conjugate_copy_kernelIN3c107complexINS2_4HalfEEE16OffsetCalculatorILi1ElLb0EENS0_33HermitianSymmetryOffsetCalculatorIlEEEEvlPT_PKSA_T0_T1_ ; -- Begin function _ZN2at6native26_fft_conjugate_copy_kernelIN3c107complexINS2_4HalfEEE16OffsetCalculatorILi1ElLb0EENS0_33HermitianSymmetryOffsetCalculatorIlEEEEvlPT_PKSA_T0_T1_
	.globl	_ZN2at6native26_fft_conjugate_copy_kernelIN3c107complexINS2_4HalfEEE16OffsetCalculatorILi1ElLb0EENS0_33HermitianSymmetryOffsetCalculatorIlEEEEvlPT_PKSA_T0_T1_
	.p2align	8
	.type	_ZN2at6native26_fft_conjugate_copy_kernelIN3c107complexINS2_4HalfEEE16OffsetCalculatorILi1ElLb0EENS0_33HermitianSymmetryOffsetCalculatorIlEEEEvlPT_PKSA_T0_T1_,@function
_ZN2at6native26_fft_conjugate_copy_kernelIN3c107complexINS2_4HalfEEE16OffsetCalculatorILi1ElLb0EENS0_33HermitianSymmetryOffsetCalculatorIlEEEEvlPT_PKSA_T0_T1_: ; @_ZN2at6native26_fft_conjugate_copy_kernelIN3c107complexINS2_4HalfEEE16OffsetCalculatorILi1ElLb0EENS0_33HermitianSymmetryOffsetCalculatorIlEEEEvlPT_PKSA_T0_T1_
; %bb.0:
	s_load_dword s2, s[4:5], 0x23c
	s_load_dwordx4 s[12:15], s[4:5], 0x0
	s_add_u32 s0, s4, 0x230
	v_mov_b32_e32 v2, 0
	s_addc_u32 s1, s5, 0
	s_waitcnt lgkmcnt(0)
	s_and_b32 s2, s2, 0xffff
	v_mov_b32_e32 v1, v2
	v_mov_b32_e32 v3, s6
	v_mad_u64_u32 v[0:1], s[6:7], s2, v3, v[0:1]
	s_mov_b32 s33, 0xffff
	v_cmp_gt_i64_e32 vcc, s[12:13], v[0:1]
	s_and_saveexec_b64 s[6:7], vcc
	s_cbranch_execz .LBB2_59
; %bb.1:
	s_load_dword s3, s[4:5], 0x18
	s_load_dwordx2 s[10:11], s[4:5], 0x10
	s_load_dword s8, s[0:1], 0x0
	s_load_dword s58, s[4:5], 0x120
	s_load_dwordx4 s[16:19], s[4:5], 0x20
	s_load_dwordx4 s[20:23], s[4:5], 0xa0
	s_load_dword s59, s[4:5], 0x228
	s_waitcnt lgkmcnt(0)
	v_sub_co_u32_e64 v3, s[0:1], s3, 1
	s_xor_b64 s[6:7], s[0:1], -1
	v_readfirstlane_b32 s0, v3
	s_add_u32 s24, s4, 32
	s_addc_u32 s25, s5, 0
	s_min_u32 s0, s0, 15
	s_cmp_gt_u32 s3, 1
	s_cselect_b64 s[26:27], -1, 0
	s_cmp_gt_i32 s58, 0
	s_cselect_b64 s[28:29], -1, 0
	s_mul_i32 s60, s8, s2
	s_add_i32 s2, s0, 1
	s_and_b32 s61, s2, 3
	s_and_b32 s62, s2, 28
	s_cmp_lg_u32 s61, 0
	v_cmp_lt_u32_e32 vcc, 1, v3
	v_cmp_ne_u32_e64 s[0:1], 2, v3
	s_cselect_b64 s[30:31], -1, 0
	s_add_u32 s34, s4, 0x128
	v_cndmask_b32_e64 v3, 0, 1, vcc
	v_cndmask_b32_e64 v4, 0, 1, s[6:7]
	s_addc_u32 s35, s5, 0
	s_mov_b64 s[36:37], 0
	s_mov_b32 s63, 0x8000
	v_cmp_ne_u32_e64 s[2:3], 1, v3
	v_cmp_ne_u32_e64 s[4:5], 1, v4
	s_branch .LBB2_4
.LBB2_2:                                ;   in Loop: Header=BB2_4 Depth=1
	v_mov_b32_e32 v6, 0
	v_mov_b32_e32 v7, 0
.LBB2_3:                                ;   in Loop: Header=BB2_4 Depth=1
	v_lshlrev_b64 v[3:4], 2, v[4:5]
	v_mov_b32_e32 v5, s11
	v_add_co_u32_e32 v3, vcc, s10, v3
	v_addc_co_u32_e32 v4, vcc, v5, v4, vcc
	global_load_dword v5, v[3:4], off
	v_lshlrev_b64 v[3:4], 2, v[6:7]
	v_add_co_u32_e32 v0, vcc, s60, v0
	v_addc_co_u32_e32 v1, vcc, 0, v1, vcc
	v_mov_b32_e32 v6, s15
	v_cmp_le_i64_e32 vcc, s[12:13], v[0:1]
	v_add_co_u32_e64 v3, s[6:7], s14, v3
	v_addc_co_u32_e64 v4, s[6:7], v6, v4, s[6:7]
	s_or_b64 s[36:37], vcc, s[36:37]
	s_waitcnt vmcnt(0)
	v_xor_b32_sdwa v6, s63, v5 dst_sel:WORD_1 dst_unused:UNUSED_PAD src0_sel:DWORD src1_sel:WORD_1
	v_and_or_b32 v5, v5, s33, v6
	global_store_dword v[3:4], v5, off
	s_andn2_b64 exec, exec, s[36:37]
	s_cbranch_execz .LBB2_59
.LBB2_4:                                ; =>This Loop Header: Depth=1
                                        ;     Child Loop BB2_7 Depth 2
                                        ;     Child Loop BB2_29 Depth 2
	;; [unrolled: 1-line block ×3, first 2 shown]
	s_and_b64 vcc, exec, s[2:3]
	s_mov_b64 s[6:7], -1
                                        ; implicit-def: $vgpr4_vgpr5
	s_cbranch_vccnz .LBB2_34
; %bb.5:                                ;   in Loop: Header=BB2_4 Depth=1
	v_mov_b32_e32 v4, 0
	v_mov_b32_e32 v5, 0
	s_and_b64 vcc, exec, s[4:5]
	s_cbranch_vccnz .LBB2_33
; %bb.6:                                ;   in Loop: Header=BB2_4 Depth=1
	v_mov_b32_e32 v4, 0
	v_mov_b32_e32 v7, v1
	;; [unrolled: 1-line block ×4, first 2 shown]
	s_mov_b32 s64, 0
	s_and_b64 vcc, exec, s[0:1]
	s_mov_b64 s[8:9], s[24:25]
	v_mov_b32_e32 v6, v0
	v_mov_b32_e32 v12, v0
	s_cbranch_vccz .LBB2_26
.LBB2_7:                                ;   Parent Loop BB2_4 Depth=1
                                        ; =>  This Inner Loop Header: Depth=2
	s_load_dwordx2 s[38:39], s[8:9], 0x0
                                        ; implicit-def: $vgpr8_vgpr9
	s_waitcnt lgkmcnt(0)
	v_or_b32_e32 v3, s39, v7
	v_cmp_ne_u64_e32 vcc, 0, v[2:3]
	s_and_saveexec_b64 s[6:7], vcc
	s_xor_b64 s[40:41], exec, s[6:7]
	s_cbranch_execz .LBB2_9
; %bb.8:                                ;   in Loop: Header=BB2_7 Depth=2
	s_ashr_i32 s42, s39, 31
	s_add_u32 s6, s38, s42
	s_mov_b32 s43, s42
	s_addc_u32 s7, s39, s42
	s_xor_b64 s[44:45], s[6:7], s[42:43]
	v_cvt_f32_u32_e32 v3, s44
	v_cvt_f32_u32_e32 v8, s45
	s_sub_u32 s43, 0, s44
	s_subb_u32 s46, 0, s45
	v_mac_f32_e32 v3, 0x4f800000, v8
	v_rcp_f32_e32 v3, v3
	v_mul_f32_e32 v3, 0x5f7ffffc, v3
	v_mul_f32_e32 v8, 0x2f800000, v3
	v_trunc_f32_e32 v8, v8
	v_mac_f32_e32 v3, 0xcf800000, v8
	v_cvt_u32_f32_e32 v8, v8
	v_cvt_u32_f32_e32 v3, v3
	v_readfirstlane_b32 s47, v8
	v_readfirstlane_b32 s6, v3
	s_mul_i32 s7, s43, s47
	s_mul_hi_u32 s49, s43, s6
	s_mul_i32 s48, s46, s6
	s_add_i32 s7, s49, s7
	s_add_i32 s7, s7, s48
	s_mul_i32 s50, s43, s6
	s_mul_i32 s49, s6, s7
	s_mul_hi_u32 s51, s6, s50
	s_mul_hi_u32 s48, s6, s7
	s_add_u32 s49, s51, s49
	s_addc_u32 s48, 0, s48
	s_mul_hi_u32 s52, s47, s50
	s_mul_i32 s50, s47, s50
	s_add_u32 s49, s49, s50
	s_mul_hi_u32 s51, s47, s7
	s_addc_u32 s48, s48, s52
	s_addc_u32 s49, s51, 0
	s_mul_i32 s7, s47, s7
	s_add_u32 s7, s48, s7
	s_addc_u32 s48, 0, s49
	s_add_u32 s49, s6, s7
	s_cselect_b64 s[6:7], -1, 0
	s_cmp_lg_u64 s[6:7], 0
	s_addc_u32 s47, s47, s48
	s_mul_i32 s6, s43, s47
	s_mul_hi_u32 s7, s43, s49
	s_add_i32 s6, s7, s6
	s_mul_i32 s46, s46, s49
	s_add_i32 s6, s6, s46
	s_mul_i32 s43, s43, s49
	s_mul_hi_u32 s46, s47, s43
	s_mul_i32 s48, s47, s43
	s_mul_i32 s51, s49, s6
	s_mul_hi_u32 s43, s49, s43
	s_mul_hi_u32 s50, s49, s6
	s_add_u32 s43, s43, s51
	s_addc_u32 s50, 0, s50
	s_add_u32 s43, s43, s48
	s_mul_hi_u32 s7, s47, s6
	s_addc_u32 s43, s50, s46
	s_addc_u32 s7, s7, 0
	s_mul_i32 s6, s47, s6
	s_add_u32 s6, s43, s6
	s_addc_u32 s43, 0, s7
	s_add_u32 s46, s49, s6
	s_cselect_b64 s[6:7], -1, 0
	v_ashrrev_i32_e32 v3, 31, v7
	s_cmp_lg_u64 s[6:7], 0
	v_add_co_u32_e32 v8, vcc, v6, v3
	s_addc_u32 s43, s47, s43
	v_xor_b32_e32 v12, v8, v3
	v_mad_u64_u32 v[8:9], s[6:7], v12, s43, 0
	v_mul_hi_u32 v11, v12, s46
	v_addc_co_u32_e32 v10, vcc, v7, v3, vcc
	v_xor_b32_e32 v13, v10, v3
	v_add_co_u32_e32 v14, vcc, v11, v8
	v_addc_co_u32_e32 v15, vcc, 0, v9, vcc
	v_mad_u64_u32 v[8:9], s[6:7], v13, s46, 0
	v_mad_u64_u32 v[10:11], s[6:7], v13, s43, 0
	v_add_co_u32_e32 v8, vcc, v14, v8
	v_addc_co_u32_e32 v8, vcc, v15, v9, vcc
	v_addc_co_u32_e32 v9, vcc, 0, v11, vcc
	v_add_co_u32_e32 v10, vcc, v8, v10
	v_addc_co_u32_e32 v11, vcc, 0, v9, vcc
	v_mul_lo_u32 v14, s45, v10
	v_mul_lo_u32 v15, s44, v11
	v_mad_u64_u32 v[8:9], s[6:7], s44, v10, 0
	v_xor_b32_e32 v3, s42, v3
	v_add3_u32 v9, v9, v15, v14
	v_sub_u32_e32 v14, v13, v9
	v_mov_b32_e32 v15, s45
	v_sub_co_u32_e32 v8, vcc, v12, v8
	v_subb_co_u32_e64 v12, s[6:7], v14, v15, vcc
	v_subrev_co_u32_e64 v14, s[6:7], s44, v8
	v_subbrev_co_u32_e64 v12, s[6:7], 0, v12, s[6:7]
	v_cmp_le_u32_e64 s[6:7], s45, v12
	v_cndmask_b32_e64 v15, 0, -1, s[6:7]
	v_cmp_le_u32_e64 s[6:7], s44, v14
	v_cndmask_b32_e64 v14, 0, -1, s[6:7]
	v_cmp_eq_u32_e64 s[6:7], s45, v12
	v_cndmask_b32_e64 v12, v15, v14, s[6:7]
	v_add_co_u32_e64 v14, s[6:7], 2, v10
	v_subb_co_u32_e32 v9, vcc, v13, v9, vcc
	v_addc_co_u32_e64 v15, s[6:7], 0, v11, s[6:7]
	v_cmp_le_u32_e32 vcc, s45, v9
	v_add_co_u32_e64 v16, s[6:7], 1, v10
	v_cndmask_b32_e64 v13, 0, -1, vcc
	v_cmp_le_u32_e32 vcc, s44, v8
	v_addc_co_u32_e64 v17, s[6:7], 0, v11, s[6:7]
	v_cndmask_b32_e64 v8, 0, -1, vcc
	v_cmp_eq_u32_e32 vcc, s45, v9
	v_cmp_ne_u32_e64 s[6:7], 0, v12
	v_cndmask_b32_e32 v8, v13, v8, vcc
	v_cndmask_b32_e64 v12, v17, v15, s[6:7]
	v_cmp_ne_u32_e32 vcc, 0, v8
	v_cndmask_b32_e64 v9, v16, v14, s[6:7]
	v_cndmask_b32_e32 v8, v11, v12, vcc
	v_cndmask_b32_e32 v9, v10, v9, vcc
	v_xor_b32_e32 v10, v8, v3
	v_xor_b32_e32 v8, v9, v3
	v_sub_co_u32_e32 v8, vcc, v8, v3
	v_subb_co_u32_e32 v9, vcc, v10, v3, vcc
.LBB2_9:                                ;   in Loop: Header=BB2_7 Depth=2
	s_andn2_saveexec_b64 s[6:7], s[40:41]
	s_cbranch_execz .LBB2_11
; %bb.10:                               ;   in Loop: Header=BB2_7 Depth=2
	v_cvt_f32_u32_e32 v3, s38
	s_sub_i32 s40, 0, s38
	v_rcp_iflag_f32_e32 v3, v3
	v_mul_f32_e32 v3, 0x4f7ffffe, v3
	v_cvt_u32_f32_e32 v3, v3
	v_mul_lo_u32 v8, s40, v3
	v_mul_hi_u32 v8, v3, v8
	v_add_u32_e32 v3, v3, v8
	v_mul_hi_u32 v3, v6, v3
	v_mul_lo_u32 v8, v3, s38
	v_add_u32_e32 v9, 1, v3
	v_sub_u32_e32 v8, v6, v8
	v_subrev_u32_e32 v10, s38, v8
	v_cmp_le_u32_e32 vcc, s38, v8
	v_cndmask_b32_e32 v8, v8, v10, vcc
	v_cndmask_b32_e32 v3, v3, v9, vcc
	v_add_u32_e32 v9, 1, v3
	v_cmp_le_u32_e32 vcc, s38, v8
	v_cndmask_b32_e32 v8, v3, v9, vcc
	v_mov_b32_e32 v9, v2
.LBB2_11:                               ;   in Loop: Header=BB2_7 Depth=2
	s_or_b64 exec, exec, s[6:7]
	s_load_dwordx2 s[40:41], s[8:9], 0x8
	s_load_dwordx2 s[42:43], s[8:9], 0x80
                                        ; implicit-def: $vgpr10_vgpr11
	s_waitcnt lgkmcnt(0)
	v_or_b32_e32 v3, s41, v9
	v_cmp_ne_u64_e32 vcc, 0, v[2:3]
	s_and_saveexec_b64 s[6:7], vcc
	s_xor_b64 s[44:45], exec, s[6:7]
	s_cbranch_execz .LBB2_13
; %bb.12:                               ;   in Loop: Header=BB2_7 Depth=2
	s_ashr_i32 s46, s41, 31
	s_add_u32 s6, s40, s46
	s_mov_b32 s47, s46
	s_addc_u32 s7, s41, s46
	s_xor_b64 s[48:49], s[6:7], s[46:47]
	v_cvt_f32_u32_e32 v3, s48
	v_cvt_f32_u32_e32 v10, s49
	s_sub_u32 s47, 0, s48
	s_subb_u32 s50, 0, s49
	v_mac_f32_e32 v3, 0x4f800000, v10
	v_rcp_f32_e32 v3, v3
	v_mul_f32_e32 v3, 0x5f7ffffc, v3
	v_mul_f32_e32 v10, 0x2f800000, v3
	v_trunc_f32_e32 v10, v10
	v_mac_f32_e32 v3, 0xcf800000, v10
	v_cvt_u32_f32_e32 v10, v10
	v_cvt_u32_f32_e32 v3, v3
	v_readfirstlane_b32 s51, v10
	v_readfirstlane_b32 s6, v3
	s_mul_i32 s7, s47, s51
	s_mul_hi_u32 s53, s47, s6
	s_mul_i32 s52, s50, s6
	s_add_i32 s7, s53, s7
	s_add_i32 s7, s7, s52
	s_mul_i32 s54, s47, s6
	s_mul_i32 s53, s6, s7
	s_mul_hi_u32 s55, s6, s54
	s_mul_hi_u32 s52, s6, s7
	s_add_u32 s53, s55, s53
	s_addc_u32 s52, 0, s52
	s_mul_hi_u32 s56, s51, s54
	s_mul_i32 s54, s51, s54
	s_add_u32 s53, s53, s54
	s_mul_hi_u32 s55, s51, s7
	s_addc_u32 s52, s52, s56
	s_addc_u32 s53, s55, 0
	s_mul_i32 s7, s51, s7
	s_add_u32 s7, s52, s7
	s_addc_u32 s52, 0, s53
	s_add_u32 s53, s6, s7
	s_cselect_b64 s[6:7], -1, 0
	s_cmp_lg_u64 s[6:7], 0
	s_addc_u32 s51, s51, s52
	s_mul_i32 s6, s47, s51
	s_mul_hi_u32 s7, s47, s53
	s_add_i32 s6, s7, s6
	s_mul_i32 s50, s50, s53
	s_add_i32 s6, s6, s50
	s_mul_i32 s47, s47, s53
	s_mul_hi_u32 s50, s51, s47
	s_mul_i32 s52, s51, s47
	s_mul_i32 s55, s53, s6
	s_mul_hi_u32 s47, s53, s47
	s_mul_hi_u32 s54, s53, s6
	s_add_u32 s47, s47, s55
	s_addc_u32 s54, 0, s54
	s_add_u32 s47, s47, s52
	s_mul_hi_u32 s7, s51, s6
	s_addc_u32 s47, s54, s50
	s_addc_u32 s7, s7, 0
	s_mul_i32 s6, s51, s6
	s_add_u32 s6, s47, s6
	s_addc_u32 s47, 0, s7
	s_add_u32 s50, s53, s6
	s_cselect_b64 s[6:7], -1, 0
	v_ashrrev_i32_e32 v3, 31, v9
	s_cmp_lg_u64 s[6:7], 0
	v_add_co_u32_e32 v10, vcc, v8, v3
	s_addc_u32 s47, s51, s47
	v_xor_b32_e32 v14, v10, v3
	v_mad_u64_u32 v[10:11], s[6:7], v14, s47, 0
	v_mul_hi_u32 v13, v14, s50
	v_addc_co_u32_e32 v12, vcc, v9, v3, vcc
	v_xor_b32_e32 v15, v12, v3
	v_add_co_u32_e32 v16, vcc, v13, v10
	v_addc_co_u32_e32 v17, vcc, 0, v11, vcc
	v_mad_u64_u32 v[10:11], s[6:7], v15, s50, 0
	v_mad_u64_u32 v[12:13], s[6:7], v15, s47, 0
	v_add_co_u32_e32 v10, vcc, v16, v10
	v_addc_co_u32_e32 v10, vcc, v17, v11, vcc
	v_addc_co_u32_e32 v11, vcc, 0, v13, vcc
	v_add_co_u32_e32 v12, vcc, v10, v12
	v_addc_co_u32_e32 v13, vcc, 0, v11, vcc
	v_mul_lo_u32 v16, s49, v12
	v_mul_lo_u32 v17, s48, v13
	v_mad_u64_u32 v[10:11], s[6:7], s48, v12, 0
	v_xor_b32_e32 v3, s46, v3
	v_add3_u32 v11, v11, v17, v16
	v_sub_u32_e32 v16, v15, v11
	v_mov_b32_e32 v17, s49
	v_sub_co_u32_e32 v10, vcc, v14, v10
	v_subb_co_u32_e64 v14, s[6:7], v16, v17, vcc
	v_subrev_co_u32_e64 v16, s[6:7], s48, v10
	v_subbrev_co_u32_e64 v14, s[6:7], 0, v14, s[6:7]
	v_cmp_le_u32_e64 s[6:7], s49, v14
	v_cndmask_b32_e64 v17, 0, -1, s[6:7]
	v_cmp_le_u32_e64 s[6:7], s48, v16
	v_cndmask_b32_e64 v16, 0, -1, s[6:7]
	v_cmp_eq_u32_e64 s[6:7], s49, v14
	v_cndmask_b32_e64 v14, v17, v16, s[6:7]
	v_add_co_u32_e64 v16, s[6:7], 2, v12
	v_subb_co_u32_e32 v11, vcc, v15, v11, vcc
	v_addc_co_u32_e64 v17, s[6:7], 0, v13, s[6:7]
	v_cmp_le_u32_e32 vcc, s49, v11
	v_add_co_u32_e64 v18, s[6:7], 1, v12
	v_cndmask_b32_e64 v15, 0, -1, vcc
	v_cmp_le_u32_e32 vcc, s48, v10
	v_addc_co_u32_e64 v19, s[6:7], 0, v13, s[6:7]
	v_cndmask_b32_e64 v10, 0, -1, vcc
	v_cmp_eq_u32_e32 vcc, s49, v11
	v_cmp_ne_u32_e64 s[6:7], 0, v14
	v_cndmask_b32_e32 v10, v15, v10, vcc
	v_cndmask_b32_e64 v14, v19, v17, s[6:7]
	v_cmp_ne_u32_e32 vcc, 0, v10
	v_cndmask_b32_e64 v11, v18, v16, s[6:7]
	v_cndmask_b32_e32 v10, v13, v14, vcc
	v_cndmask_b32_e32 v11, v12, v11, vcc
	v_xor_b32_e32 v12, v10, v3
	v_xor_b32_e32 v10, v11, v3
	v_sub_co_u32_e32 v10, vcc, v10, v3
	v_subb_co_u32_e32 v11, vcc, v12, v3, vcc
.LBB2_13:                               ;   in Loop: Header=BB2_7 Depth=2
	s_andn2_saveexec_b64 s[6:7], s[44:45]
	s_cbranch_execz .LBB2_15
; %bb.14:                               ;   in Loop: Header=BB2_7 Depth=2
	v_cvt_f32_u32_e32 v3, s40
	s_sub_i32 s44, 0, s40
	v_rcp_iflag_f32_e32 v3, v3
	v_mul_f32_e32 v3, 0x4f7ffffe, v3
	v_cvt_u32_f32_e32 v3, v3
	v_mul_lo_u32 v10, s44, v3
	v_mul_hi_u32 v10, v3, v10
	v_add_u32_e32 v3, v3, v10
	v_mul_hi_u32 v3, v8, v3
	v_mul_lo_u32 v10, v3, s40
	v_add_u32_e32 v11, 1, v3
	v_sub_u32_e32 v10, v8, v10
	v_subrev_u32_e32 v12, s40, v10
	v_cmp_le_u32_e32 vcc, s40, v10
	v_cndmask_b32_e32 v10, v10, v12, vcc
	v_cndmask_b32_e32 v3, v3, v11, vcc
	v_add_u32_e32 v11, 1, v3
	v_cmp_le_u32_e32 vcc, s40, v10
	v_cndmask_b32_e32 v10, v3, v11, vcc
	v_mov_b32_e32 v11, v2
.LBB2_15:                               ;   in Loop: Header=BB2_7 Depth=2
	s_or_b64 exec, exec, s[6:7]
	s_load_dwordx2 s[44:45], s[8:9], 0x10
	s_load_dwordx2 s[46:47], s[8:9], 0x88
                                        ; implicit-def: $vgpr14_vgpr15
	s_waitcnt lgkmcnt(0)
	v_or_b32_e32 v3, s45, v11
	v_cmp_ne_u64_e32 vcc, 0, v[2:3]
	s_and_saveexec_b64 s[6:7], vcc
	s_xor_b64 s[48:49], exec, s[6:7]
	s_cbranch_execz .LBB2_17
; %bb.16:                               ;   in Loop: Header=BB2_7 Depth=2
	s_ashr_i32 s50, s45, 31
	s_add_u32 s6, s44, s50
	s_mov_b32 s51, s50
	s_addc_u32 s7, s45, s50
	s_xor_b64 s[52:53], s[6:7], s[50:51]
	v_cvt_f32_u32_e32 v3, s52
	v_cvt_f32_u32_e32 v12, s53
	s_sub_u32 s51, 0, s52
	s_subb_u32 s54, 0, s53
	v_mac_f32_e32 v3, 0x4f800000, v12
	v_rcp_f32_e32 v3, v3
	v_mul_f32_e32 v3, 0x5f7ffffc, v3
	v_mul_f32_e32 v12, 0x2f800000, v3
	v_trunc_f32_e32 v12, v12
	v_mac_f32_e32 v3, 0xcf800000, v12
	v_cvt_u32_f32_e32 v12, v12
	v_cvt_u32_f32_e32 v3, v3
	v_readfirstlane_b32 s55, v12
	v_readfirstlane_b32 s6, v3
	s_mul_i32 s7, s51, s55
	s_mul_hi_u32 s57, s51, s6
	s_mul_i32 s56, s54, s6
	s_add_i32 s7, s57, s7
	s_add_i32 s7, s7, s56
	s_mul_i32 s65, s51, s6
	s_mul_i32 s57, s6, s7
	s_mul_hi_u32 s66, s6, s65
	s_mul_hi_u32 s56, s6, s7
	s_add_u32 s57, s66, s57
	s_addc_u32 s56, 0, s56
	s_mul_hi_u32 s67, s55, s65
	s_mul_i32 s65, s55, s65
	s_add_u32 s57, s57, s65
	s_mul_hi_u32 s66, s55, s7
	s_addc_u32 s56, s56, s67
	s_addc_u32 s57, s66, 0
	s_mul_i32 s7, s55, s7
	s_add_u32 s7, s56, s7
	s_addc_u32 s56, 0, s57
	s_add_u32 s57, s6, s7
	s_cselect_b64 s[6:7], -1, 0
	s_cmp_lg_u64 s[6:7], 0
	s_addc_u32 s55, s55, s56
	s_mul_i32 s6, s51, s55
	s_mul_hi_u32 s7, s51, s57
	s_add_i32 s6, s7, s6
	s_mul_i32 s54, s54, s57
	s_add_i32 s6, s6, s54
	s_mul_i32 s51, s51, s57
	s_mul_hi_u32 s54, s55, s51
	s_mul_i32 s56, s55, s51
	s_mul_i32 s66, s57, s6
	s_mul_hi_u32 s51, s57, s51
	s_mul_hi_u32 s65, s57, s6
	s_add_u32 s51, s51, s66
	s_addc_u32 s65, 0, s65
	s_add_u32 s51, s51, s56
	s_mul_hi_u32 s7, s55, s6
	s_addc_u32 s51, s65, s54
	s_addc_u32 s7, s7, 0
	s_mul_i32 s6, s55, s6
	s_add_u32 s6, s51, s6
	s_addc_u32 s51, 0, s7
	s_add_u32 s54, s57, s6
	s_cselect_b64 s[6:7], -1, 0
	v_ashrrev_i32_e32 v3, 31, v11
	s_cmp_lg_u64 s[6:7], 0
	v_add_co_u32_e32 v12, vcc, v10, v3
	s_addc_u32 s51, s55, s51
	v_xor_b32_e32 v16, v12, v3
	v_mad_u64_u32 v[12:13], s[6:7], v16, s51, 0
	v_mul_hi_u32 v15, v16, s54
	v_addc_co_u32_e32 v14, vcc, v11, v3, vcc
	v_xor_b32_e32 v17, v14, v3
	v_add_co_u32_e32 v18, vcc, v15, v12
	v_addc_co_u32_e32 v19, vcc, 0, v13, vcc
	v_mad_u64_u32 v[12:13], s[6:7], v17, s54, 0
	v_mad_u64_u32 v[14:15], s[6:7], v17, s51, 0
	v_add_co_u32_e32 v12, vcc, v18, v12
	v_addc_co_u32_e32 v12, vcc, v19, v13, vcc
	v_addc_co_u32_e32 v13, vcc, 0, v15, vcc
	v_add_co_u32_e32 v14, vcc, v12, v14
	v_addc_co_u32_e32 v15, vcc, 0, v13, vcc
	v_mul_lo_u32 v18, s53, v14
	v_mul_lo_u32 v19, s52, v15
	v_mad_u64_u32 v[12:13], s[6:7], s52, v14, 0
	v_xor_b32_e32 v3, s50, v3
	v_add3_u32 v13, v13, v19, v18
	v_sub_u32_e32 v18, v17, v13
	v_mov_b32_e32 v19, s53
	v_sub_co_u32_e32 v12, vcc, v16, v12
	v_subb_co_u32_e64 v16, s[6:7], v18, v19, vcc
	v_subrev_co_u32_e64 v18, s[6:7], s52, v12
	v_subbrev_co_u32_e64 v16, s[6:7], 0, v16, s[6:7]
	v_cmp_le_u32_e64 s[6:7], s53, v16
	v_cndmask_b32_e64 v19, 0, -1, s[6:7]
	v_cmp_le_u32_e64 s[6:7], s52, v18
	v_cndmask_b32_e64 v18, 0, -1, s[6:7]
	v_cmp_eq_u32_e64 s[6:7], s53, v16
	v_cndmask_b32_e64 v16, v19, v18, s[6:7]
	v_add_co_u32_e64 v18, s[6:7], 2, v14
	v_subb_co_u32_e32 v13, vcc, v17, v13, vcc
	v_addc_co_u32_e64 v19, s[6:7], 0, v15, s[6:7]
	v_cmp_le_u32_e32 vcc, s53, v13
	v_add_co_u32_e64 v20, s[6:7], 1, v14
	v_cndmask_b32_e64 v17, 0, -1, vcc
	v_cmp_le_u32_e32 vcc, s52, v12
	v_addc_co_u32_e64 v21, s[6:7], 0, v15, s[6:7]
	v_cndmask_b32_e64 v12, 0, -1, vcc
	v_cmp_eq_u32_e32 vcc, s53, v13
	v_cmp_ne_u32_e64 s[6:7], 0, v16
	v_cndmask_b32_e32 v12, v17, v12, vcc
	v_cmp_ne_u32_e32 vcc, 0, v12
	v_cndmask_b32_e64 v13, v20, v18, s[6:7]
	v_cndmask_b32_e64 v16, v21, v19, s[6:7]
	v_cndmask_b32_e32 v13, v14, v13, vcc
	v_cndmask_b32_e32 v12, v15, v16, vcc
	v_xor_b32_e32 v13, v13, v3
	v_xor_b32_e32 v12, v12, v3
	v_sub_co_u32_e32 v14, vcc, v13, v3
	v_subb_co_u32_e32 v15, vcc, v12, v3, vcc
.LBB2_17:                               ;   in Loop: Header=BB2_7 Depth=2
	s_andn2_saveexec_b64 s[6:7], s[48:49]
	s_cbranch_execz .LBB2_19
; %bb.18:                               ;   in Loop: Header=BB2_7 Depth=2
	v_cvt_f32_u32_e32 v3, s44
	s_sub_i32 s48, 0, s44
	v_mov_b32_e32 v15, v2
	v_rcp_iflag_f32_e32 v3, v3
	v_mul_f32_e32 v3, 0x4f7ffffe, v3
	v_cvt_u32_f32_e32 v3, v3
	v_mul_lo_u32 v12, s48, v3
	v_mul_hi_u32 v12, v3, v12
	v_add_u32_e32 v3, v3, v12
	v_mul_hi_u32 v3, v10, v3
	v_mul_lo_u32 v12, v3, s44
	v_add_u32_e32 v13, 1, v3
	v_sub_u32_e32 v12, v10, v12
	v_subrev_u32_e32 v14, s44, v12
	v_cmp_le_u32_e32 vcc, s44, v12
	v_cndmask_b32_e32 v12, v12, v14, vcc
	v_cndmask_b32_e32 v3, v3, v13, vcc
	v_add_u32_e32 v13, 1, v3
	v_cmp_le_u32_e32 vcc, s44, v12
	v_cndmask_b32_e32 v14, v3, v13, vcc
.LBB2_19:                               ;   in Loop: Header=BB2_7 Depth=2
	s_or_b64 exec, exec, s[6:7]
	s_load_dwordx2 s[48:49], s[8:9], 0x18
	s_load_dwordx2 s[50:51], s[8:9], 0x90
                                        ; implicit-def: $vgpr12_vgpr13
	s_waitcnt lgkmcnt(0)
	v_or_b32_e32 v3, s49, v15
	v_cmp_ne_u64_e32 vcc, 0, v[2:3]
	s_and_saveexec_b64 s[6:7], vcc
	s_xor_b64 s[52:53], exec, s[6:7]
	s_cbranch_execz .LBB2_21
; %bb.20:                               ;   in Loop: Header=BB2_7 Depth=2
	s_ashr_i32 s54, s49, 31
	s_add_u32 s6, s48, s54
	s_mov_b32 s55, s54
	s_addc_u32 s7, s49, s54
	s_xor_b64 s[56:57], s[6:7], s[54:55]
	v_cvt_f32_u32_e32 v3, s56
	v_cvt_f32_u32_e32 v12, s57
	s_sub_u32 s55, 0, s56
	s_subb_u32 s65, 0, s57
	v_mac_f32_e32 v3, 0x4f800000, v12
	v_rcp_f32_e32 v3, v3
	v_mul_f32_e32 v3, 0x5f7ffffc, v3
	v_mul_f32_e32 v12, 0x2f800000, v3
	v_trunc_f32_e32 v12, v12
	v_mac_f32_e32 v3, 0xcf800000, v12
	v_cvt_u32_f32_e32 v12, v12
	v_cvt_u32_f32_e32 v3, v3
	v_readfirstlane_b32 s66, v12
	v_readfirstlane_b32 s6, v3
	s_mul_i32 s7, s55, s66
	s_mul_hi_u32 s68, s55, s6
	s_mul_i32 s67, s65, s6
	s_add_i32 s7, s68, s7
	s_add_i32 s7, s7, s67
	s_mul_i32 s69, s55, s6
	s_mul_i32 s68, s6, s7
	s_mul_hi_u32 s70, s6, s69
	s_mul_hi_u32 s67, s6, s7
	s_add_u32 s68, s70, s68
	s_addc_u32 s67, 0, s67
	s_mul_hi_u32 s71, s66, s69
	s_mul_i32 s69, s66, s69
	s_add_u32 s68, s68, s69
	s_mul_hi_u32 s70, s66, s7
	s_addc_u32 s67, s67, s71
	s_addc_u32 s68, s70, 0
	s_mul_i32 s7, s66, s7
	s_add_u32 s7, s67, s7
	s_addc_u32 s67, 0, s68
	s_add_u32 s68, s6, s7
	s_cselect_b64 s[6:7], -1, 0
	s_cmp_lg_u64 s[6:7], 0
	s_addc_u32 s66, s66, s67
	s_mul_i32 s6, s55, s66
	s_mul_hi_u32 s7, s55, s68
	s_add_i32 s6, s7, s6
	s_mul_i32 s65, s65, s68
	s_add_i32 s6, s6, s65
	s_mul_i32 s55, s55, s68
	s_mul_hi_u32 s65, s66, s55
	s_mul_i32 s67, s66, s55
	s_mul_i32 s70, s68, s6
	s_mul_hi_u32 s55, s68, s55
	s_mul_hi_u32 s69, s68, s6
	s_add_u32 s55, s55, s70
	s_addc_u32 s69, 0, s69
	s_add_u32 s55, s55, s67
	s_mul_hi_u32 s7, s66, s6
	s_addc_u32 s55, s69, s65
	s_addc_u32 s7, s7, 0
	s_mul_i32 s6, s66, s6
	s_add_u32 s6, s55, s6
	s_addc_u32 s55, 0, s7
	s_add_u32 s65, s68, s6
	s_cselect_b64 s[6:7], -1, 0
	v_ashrrev_i32_e32 v3, 31, v15
	s_cmp_lg_u64 s[6:7], 0
	v_add_co_u32_e32 v12, vcc, v14, v3
	s_addc_u32 s55, s66, s55
	v_xor_b32_e32 v18, v12, v3
	v_mad_u64_u32 v[12:13], s[6:7], v18, s55, 0
	v_mul_hi_u32 v17, v18, s65
	v_addc_co_u32_e32 v16, vcc, v15, v3, vcc
	v_xor_b32_e32 v19, v16, v3
	v_add_co_u32_e32 v20, vcc, v17, v12
	v_addc_co_u32_e32 v21, vcc, 0, v13, vcc
	v_mad_u64_u32 v[12:13], s[6:7], v19, s65, 0
	v_mad_u64_u32 v[16:17], s[6:7], v19, s55, 0
	v_add_co_u32_e32 v12, vcc, v20, v12
	v_addc_co_u32_e32 v12, vcc, v21, v13, vcc
	v_addc_co_u32_e32 v13, vcc, 0, v17, vcc
	v_add_co_u32_e32 v16, vcc, v12, v16
	v_addc_co_u32_e32 v17, vcc, 0, v13, vcc
	v_mul_lo_u32 v20, s57, v16
	v_mul_lo_u32 v21, s56, v17
	v_mad_u64_u32 v[12:13], s[6:7], s56, v16, 0
	v_xor_b32_e32 v3, s54, v3
	v_add3_u32 v13, v13, v21, v20
	v_sub_u32_e32 v20, v19, v13
	v_mov_b32_e32 v21, s57
	v_sub_co_u32_e32 v12, vcc, v18, v12
	v_subb_co_u32_e64 v18, s[6:7], v20, v21, vcc
	v_subrev_co_u32_e64 v20, s[6:7], s56, v12
	v_subbrev_co_u32_e64 v18, s[6:7], 0, v18, s[6:7]
	v_cmp_le_u32_e64 s[6:7], s57, v18
	v_cndmask_b32_e64 v21, 0, -1, s[6:7]
	v_cmp_le_u32_e64 s[6:7], s56, v20
	v_cndmask_b32_e64 v20, 0, -1, s[6:7]
	v_cmp_eq_u32_e64 s[6:7], s57, v18
	v_cndmask_b32_e64 v18, v21, v20, s[6:7]
	v_add_co_u32_e64 v20, s[6:7], 2, v16
	v_subb_co_u32_e32 v13, vcc, v19, v13, vcc
	v_addc_co_u32_e64 v21, s[6:7], 0, v17, s[6:7]
	v_cmp_le_u32_e32 vcc, s57, v13
	v_add_co_u32_e64 v22, s[6:7], 1, v16
	v_cndmask_b32_e64 v19, 0, -1, vcc
	v_cmp_le_u32_e32 vcc, s56, v12
	v_addc_co_u32_e64 v23, s[6:7], 0, v17, s[6:7]
	v_cndmask_b32_e64 v12, 0, -1, vcc
	v_cmp_eq_u32_e32 vcc, s57, v13
	v_cmp_ne_u32_e64 s[6:7], 0, v18
	v_cndmask_b32_e32 v12, v19, v12, vcc
	v_cndmask_b32_e64 v18, v23, v21, s[6:7]
	v_cmp_ne_u32_e32 vcc, 0, v12
	v_cndmask_b32_e64 v13, v22, v20, s[6:7]
	v_cndmask_b32_e32 v12, v17, v18, vcc
	v_cndmask_b32_e32 v13, v16, v13, vcc
	v_xor_b32_e32 v16, v12, v3
	v_xor_b32_e32 v12, v13, v3
	v_sub_co_u32_e32 v12, vcc, v12, v3
	v_subb_co_u32_e32 v13, vcc, v16, v3, vcc
.LBB2_21:                               ;   in Loop: Header=BB2_7 Depth=2
	s_andn2_saveexec_b64 s[6:7], s[52:53]
	s_cbranch_execz .LBB2_23
; %bb.22:                               ;   in Loop: Header=BB2_7 Depth=2
	v_cvt_f32_u32_e32 v3, s48
	s_sub_i32 s52, 0, s48
	v_rcp_iflag_f32_e32 v3, v3
	v_mul_f32_e32 v3, 0x4f7ffffe, v3
	v_cvt_u32_f32_e32 v3, v3
	v_mul_lo_u32 v12, s52, v3
	v_mul_hi_u32 v12, v3, v12
	v_add_u32_e32 v3, v3, v12
	v_mul_hi_u32 v3, v14, v3
	v_mul_lo_u32 v12, v3, s48
	v_add_u32_e32 v13, 1, v3
	v_sub_u32_e32 v12, v14, v12
	v_subrev_u32_e32 v16, s48, v12
	v_cmp_le_u32_e32 vcc, s48, v12
	v_cndmask_b32_e32 v12, v12, v16, vcc
	v_cndmask_b32_e32 v3, v3, v13, vcc
	v_add_u32_e32 v13, 1, v3
	v_cmp_le_u32_e32 vcc, s48, v12
	v_cndmask_b32_e32 v12, v3, v13, vcc
	v_mov_b32_e32 v13, v2
.LBB2_23:                               ;   in Loop: Header=BB2_7 Depth=2
	s_or_b64 exec, exec, s[6:7]
	v_mul_lo_u32 v3, v9, s38
	v_mul_lo_u32 v18, v8, s39
	v_mad_u64_u32 v[16:17], s[6:7], v8, s38, 0
	s_add_i32 s64, s64, 4
	v_add3_u32 v3, v17, v18, v3
	v_sub_co_u32_e32 v6, vcc, v6, v16
	v_subb_co_u32_e32 v3, vcc, v7, v3, vcc
	v_mul_lo_u32 v7, s42, v3
	v_mul_lo_u32 v16, s43, v6
	v_mad_u64_u32 v[3:4], s[6:7], s42, v6, v[4:5]
	v_mul_lo_u32 v17, v11, s40
	v_mul_lo_u32 v18, v10, s41
	v_mad_u64_u32 v[5:6], s[6:7], v10, s40, 0
	v_add3_u32 v4, v16, v4, v7
	v_mul_lo_u32 v16, v14, s45
	v_add3_u32 v6, v6, v18, v17
	v_sub_co_u32_e32 v5, vcc, v8, v5
	v_subb_co_u32_e32 v6, vcc, v9, v6, vcc
	v_mad_u64_u32 v[3:4], s[6:7], s46, v5, v[3:4]
	v_mul_lo_u32 v7, s46, v6
	v_mul_lo_u32 v8, s47, v5
	;; [unrolled: 1-line block ×3, first 2 shown]
	v_mad_u64_u32 v[5:6], s[6:7], v14, s44, 0
	v_add3_u32 v4, v8, v4, v7
	v_add3_u32 v6, v6, v16, v9
	v_sub_co_u32_e32 v5, vcc, v10, v5
	v_subb_co_u32_e32 v6, vcc, v11, v6, vcc
	v_mad_u64_u32 v[3:4], s[6:7], s50, v5, v[3:4]
	v_mul_lo_u32 v7, s50, v6
	v_mul_lo_u32 v8, s51, v5
	;; [unrolled: 1-line block ×4, first 2 shown]
	v_mad_u64_u32 v[5:6], s[6:7], v12, s48, 0
	s_load_dwordx2 s[6:7], s[8:9], 0x98
	v_add3_u32 v4, v8, v4, v7
	v_add3_u32 v6, v6, v10, v9
	v_sub_co_u32_e32 v7, vcc, v14, v5
	v_subb_co_u32_e32 v6, vcc, v15, v6, vcc
	s_waitcnt lgkmcnt(0)
	v_mad_u64_u32 v[4:5], s[38:39], s6, v7, v[3:4]
	v_mul_lo_u32 v3, s6, v6
	v_mul_lo_u32 v6, s7, v7
	s_add_u32 s8, s8, 32
	s_addc_u32 s9, s9, 0
	s_cmp_lg_u32 s62, s64
	v_add3_u32 v5, v6, v5, v3
	s_cbranch_scc0 .LBB2_25
; %bb.24:                               ;   in Loop: Header=BB2_7 Depth=2
	v_mov_b32_e32 v6, v12
	v_mov_b32_e32 v7, v13
	s_branch .LBB2_7
.LBB2_25:                               ;   in Loop: Header=BB2_4 Depth=1
	s_mov_b32 s64, s62
.LBB2_26:                               ;   in Loop: Header=BB2_4 Depth=1
	s_andn2_b64 vcc, exec, s[30:31]
	s_cbranch_vccnz .LBB2_33
; %bb.27:                               ;   in Loop: Header=BB2_4 Depth=1
	s_lshl_b32 s6, s64, 3
	s_add_u32 s8, s24, s6
	s_addc_u32 s9, s25, 0
	s_mov_b32 s46, s61
	s_branch .LBB2_29
.LBB2_28:                               ;   in Loop: Header=BB2_29 Depth=2
	s_or_b64 exec, exec, s[6:7]
	v_mul_lo_u32 v3, v7, s38
	v_mul_lo_u32 v10, v6, s39
	v_mad_u64_u32 v[8:9], s[6:7], v6, s38, 0
	s_load_dwordx2 s[6:7], s[8:9], 0x80
	s_add_u32 s8, s8, 8
	v_add3_u32 v3, v9, v10, v3
	v_sub_co_u32_e32 v8, vcc, v12, v8
	v_subb_co_u32_e32 v3, vcc, v13, v3, vcc
	s_waitcnt lgkmcnt(0)
	v_mul_lo_u32 v3, s6, v3
	v_mul_lo_u32 v9, s7, v8
	v_mad_u64_u32 v[4:5], s[6:7], s6, v8, v[4:5]
	s_addc_u32 s9, s9, 0
	s_add_i32 s46, s46, -1
	v_mov_b32_e32 v13, v7
	v_add3_u32 v5, v9, v5, v3
	s_cmp_lg_u32 s46, 0
	v_mov_b32_e32 v12, v6
	s_cbranch_scc0 .LBB2_33
.LBB2_29:                               ;   Parent Loop BB2_4 Depth=1
                                        ; =>  This Inner Loop Header: Depth=2
	s_load_dwordx2 s[38:39], s[8:9], 0x0
                                        ; implicit-def: $vgpr6_vgpr7
	s_waitcnt lgkmcnt(0)
	v_or_b32_e32 v3, s39, v13
	v_cmp_ne_u64_e32 vcc, 0, v[2:3]
	s_and_saveexec_b64 s[6:7], vcc
	s_xor_b64 s[40:41], exec, s[6:7]
	s_cbranch_execz .LBB2_31
; %bb.30:                               ;   in Loop: Header=BB2_29 Depth=2
	s_ashr_i32 s42, s39, 31
	s_add_u32 s6, s38, s42
	s_mov_b32 s43, s42
	s_addc_u32 s7, s39, s42
	s_xor_b64 s[44:45], s[6:7], s[42:43]
	v_cvt_f32_u32_e32 v3, s44
	v_cvt_f32_u32_e32 v6, s45
	s_sub_u32 s43, 0, s44
	s_subb_u32 s47, 0, s45
	v_mac_f32_e32 v3, 0x4f800000, v6
	v_rcp_f32_e32 v3, v3
	v_mul_f32_e32 v3, 0x5f7ffffc, v3
	v_mul_f32_e32 v6, 0x2f800000, v3
	v_trunc_f32_e32 v6, v6
	v_mac_f32_e32 v3, 0xcf800000, v6
	v_cvt_u32_f32_e32 v6, v6
	v_cvt_u32_f32_e32 v3, v3
	v_readfirstlane_b32 s48, v6
	v_readfirstlane_b32 s6, v3
	s_mul_i32 s7, s43, s48
	s_mul_hi_u32 s50, s43, s6
	s_mul_i32 s49, s47, s6
	s_add_i32 s7, s50, s7
	s_add_i32 s7, s7, s49
	s_mul_i32 s51, s43, s6
	s_mul_i32 s50, s6, s7
	s_mul_hi_u32 s52, s6, s51
	s_mul_hi_u32 s49, s6, s7
	s_add_u32 s50, s52, s50
	s_addc_u32 s49, 0, s49
	s_mul_hi_u32 s53, s48, s51
	s_mul_i32 s51, s48, s51
	s_add_u32 s50, s50, s51
	s_mul_hi_u32 s52, s48, s7
	s_addc_u32 s49, s49, s53
	s_addc_u32 s50, s52, 0
	s_mul_i32 s7, s48, s7
	s_add_u32 s7, s49, s7
	s_addc_u32 s49, 0, s50
	s_add_u32 s50, s6, s7
	s_cselect_b64 s[6:7], -1, 0
	s_cmp_lg_u64 s[6:7], 0
	s_addc_u32 s48, s48, s49
	s_mul_i32 s6, s43, s48
	s_mul_hi_u32 s7, s43, s50
	s_add_i32 s6, s7, s6
	s_mul_i32 s47, s47, s50
	s_add_i32 s6, s6, s47
	s_mul_i32 s43, s43, s50
	s_mul_hi_u32 s47, s48, s43
	s_mul_i32 s49, s48, s43
	s_mul_i32 s52, s50, s6
	s_mul_hi_u32 s43, s50, s43
	s_mul_hi_u32 s51, s50, s6
	s_add_u32 s43, s43, s52
	s_addc_u32 s51, 0, s51
	s_add_u32 s43, s43, s49
	s_mul_hi_u32 s7, s48, s6
	s_addc_u32 s43, s51, s47
	s_addc_u32 s7, s7, 0
	s_mul_i32 s6, s48, s6
	s_add_u32 s6, s43, s6
	s_addc_u32 s43, 0, s7
	s_add_u32 s47, s50, s6
	s_cselect_b64 s[6:7], -1, 0
	v_ashrrev_i32_e32 v3, 31, v13
	s_cmp_lg_u64 s[6:7], 0
	v_add_co_u32_e32 v6, vcc, v12, v3
	s_addc_u32 s43, s48, s43
	v_xor_b32_e32 v10, v6, v3
	v_mad_u64_u32 v[6:7], s[6:7], v10, s43, 0
	v_mul_hi_u32 v9, v10, s47
	v_addc_co_u32_e32 v8, vcc, v13, v3, vcc
	v_xor_b32_e32 v11, v8, v3
	v_add_co_u32_e32 v14, vcc, v9, v6
	v_addc_co_u32_e32 v15, vcc, 0, v7, vcc
	v_mad_u64_u32 v[6:7], s[6:7], v11, s47, 0
	v_mad_u64_u32 v[8:9], s[6:7], v11, s43, 0
	v_add_co_u32_e32 v6, vcc, v14, v6
	v_addc_co_u32_e32 v6, vcc, v15, v7, vcc
	v_addc_co_u32_e32 v7, vcc, 0, v9, vcc
	v_add_co_u32_e32 v8, vcc, v6, v8
	v_addc_co_u32_e32 v9, vcc, 0, v7, vcc
	v_mul_lo_u32 v14, s45, v8
	v_mul_lo_u32 v15, s44, v9
	v_mad_u64_u32 v[6:7], s[6:7], s44, v8, 0
	v_xor_b32_e32 v3, s42, v3
	v_add3_u32 v7, v7, v15, v14
	v_sub_u32_e32 v14, v11, v7
	v_mov_b32_e32 v15, s45
	v_sub_co_u32_e32 v6, vcc, v10, v6
	v_subb_co_u32_e64 v10, s[6:7], v14, v15, vcc
	v_subrev_co_u32_e64 v14, s[6:7], s44, v6
	v_subbrev_co_u32_e64 v10, s[6:7], 0, v10, s[6:7]
	v_cmp_le_u32_e64 s[6:7], s45, v10
	v_cndmask_b32_e64 v15, 0, -1, s[6:7]
	v_cmp_le_u32_e64 s[6:7], s44, v14
	v_cndmask_b32_e64 v14, 0, -1, s[6:7]
	v_cmp_eq_u32_e64 s[6:7], s45, v10
	v_cndmask_b32_e64 v10, v15, v14, s[6:7]
	v_add_co_u32_e64 v14, s[6:7], 2, v8
	v_subb_co_u32_e32 v7, vcc, v11, v7, vcc
	v_addc_co_u32_e64 v15, s[6:7], 0, v9, s[6:7]
	v_cmp_le_u32_e32 vcc, s45, v7
	v_add_co_u32_e64 v16, s[6:7], 1, v8
	v_cndmask_b32_e64 v11, 0, -1, vcc
	v_cmp_le_u32_e32 vcc, s44, v6
	v_addc_co_u32_e64 v17, s[6:7], 0, v9, s[6:7]
	v_cndmask_b32_e64 v6, 0, -1, vcc
	v_cmp_eq_u32_e32 vcc, s45, v7
	v_cmp_ne_u32_e64 s[6:7], 0, v10
	v_cndmask_b32_e32 v6, v11, v6, vcc
	v_cndmask_b32_e64 v10, v17, v15, s[6:7]
	v_cmp_ne_u32_e32 vcc, 0, v6
	v_cndmask_b32_e64 v7, v16, v14, s[6:7]
	v_cndmask_b32_e32 v6, v9, v10, vcc
	v_cndmask_b32_e32 v7, v8, v7, vcc
	v_xor_b32_e32 v8, v6, v3
	v_xor_b32_e32 v6, v7, v3
	v_sub_co_u32_e32 v6, vcc, v6, v3
	v_subb_co_u32_e32 v7, vcc, v8, v3, vcc
.LBB2_31:                               ;   in Loop: Header=BB2_29 Depth=2
	s_andn2_saveexec_b64 s[6:7], s[40:41]
	s_cbranch_execz .LBB2_28
; %bb.32:                               ;   in Loop: Header=BB2_29 Depth=2
	v_cvt_f32_u32_e32 v3, s38
	s_sub_i32 s40, 0, s38
	v_rcp_iflag_f32_e32 v3, v3
	v_mul_f32_e32 v3, 0x4f7ffffe, v3
	v_cvt_u32_f32_e32 v3, v3
	v_mul_lo_u32 v6, s40, v3
	v_mul_hi_u32 v6, v3, v6
	v_add_u32_e32 v3, v3, v6
	v_mul_hi_u32 v3, v12, v3
	v_mul_lo_u32 v6, v3, s38
	v_add_u32_e32 v7, 1, v3
	v_sub_u32_e32 v6, v12, v6
	v_subrev_u32_e32 v8, s38, v6
	v_cmp_le_u32_e32 vcc, s38, v6
	v_cndmask_b32_e32 v6, v6, v8, vcc
	v_cndmask_b32_e32 v3, v3, v7, vcc
	v_add_u32_e32 v7, 1, v3
	v_cmp_le_u32_e32 vcc, s38, v6
	v_cndmask_b32_e32 v6, v3, v7, vcc
	v_mov_b32_e32 v7, v2
	s_branch .LBB2_28
.LBB2_33:                               ;   in Loop: Header=BB2_4 Depth=1
	s_mov_b64 s[6:7], 0
.LBB2_34:                               ;   in Loop: Header=BB2_4 Depth=1
	s_andn2_b64 vcc, exec, s[6:7]
	s_cbranch_vccnz .LBB2_45
; %bb.35:                               ;   in Loop: Header=BB2_4 Depth=1
	v_or_b32_e32 v3, s17, v1
	v_cmp_ne_u64_e32 vcc, 0, v[2:3]
                                        ; implicit-def: $vgpr6_vgpr7
	s_and_saveexec_b64 s[6:7], vcc
	s_xor_b64 s[8:9], exec, s[6:7]
	s_cbranch_execz .LBB2_37
; %bb.36:                               ;   in Loop: Header=BB2_4 Depth=1
	s_ashr_i32 s38, s17, 31
	s_add_u32 s6, s16, s38
	s_mov_b32 s39, s38
	s_addc_u32 s7, s17, s38
	s_xor_b64 s[40:41], s[6:7], s[38:39]
	v_cvt_f32_u32_e32 v3, s40
	v_cvt_f32_u32_e32 v4, s41
	s_sub_u32 s39, 0, s40
	s_subb_u32 s42, 0, s41
	v_ashrrev_i32_e32 v7, 31, v1
	v_mac_f32_e32 v3, 0x4f800000, v4
	v_rcp_f32_e32 v3, v3
	v_mul_f32_e32 v3, 0x5f7ffffc, v3
	v_mul_f32_e32 v4, 0x2f800000, v3
	v_trunc_f32_e32 v4, v4
	v_mac_f32_e32 v3, 0xcf800000, v4
	v_cvt_u32_f32_e32 v4, v4
	v_cvt_u32_f32_e32 v3, v3
	v_readfirstlane_b32 s43, v4
	v_readfirstlane_b32 s6, v3
	s_mul_i32 s7, s39, s43
	s_mul_hi_u32 s45, s39, s6
	s_mul_i32 s44, s42, s6
	s_add_i32 s7, s45, s7
	s_add_i32 s7, s7, s44
	s_mul_i32 s46, s39, s6
	s_mul_i32 s45, s6, s7
	s_mul_hi_u32 s47, s6, s46
	s_mul_hi_u32 s44, s6, s7
	s_add_u32 s45, s47, s45
	s_addc_u32 s44, 0, s44
	s_mul_hi_u32 s48, s43, s46
	s_mul_i32 s46, s43, s46
	s_add_u32 s45, s45, s46
	s_mul_hi_u32 s47, s43, s7
	s_addc_u32 s44, s44, s48
	s_addc_u32 s45, s47, 0
	s_mul_i32 s7, s43, s7
	s_add_u32 s7, s44, s7
	s_addc_u32 s44, 0, s45
	s_add_u32 s45, s6, s7
	s_cselect_b64 s[6:7], -1, 0
	s_cmp_lg_u64 s[6:7], 0
	s_addc_u32 s43, s43, s44
	s_mul_i32 s6, s39, s43
	s_mul_hi_u32 s7, s39, s45
	s_add_i32 s6, s7, s6
	s_mul_i32 s42, s42, s45
	s_add_i32 s6, s6, s42
	s_mul_i32 s39, s39, s45
	s_mul_hi_u32 s42, s43, s39
	s_mul_i32 s44, s43, s39
	s_mul_i32 s47, s45, s6
	s_mul_hi_u32 s39, s45, s39
	s_mul_hi_u32 s46, s45, s6
	s_add_u32 s39, s39, s47
	s_addc_u32 s46, 0, s46
	s_add_u32 s39, s39, s44
	s_mul_hi_u32 s7, s43, s6
	s_addc_u32 s39, s46, s42
	s_addc_u32 s7, s7, 0
	s_mul_i32 s6, s43, s6
	s_add_u32 s6, s39, s6
	s_addc_u32 s39, 0, s7
	s_add_u32 s42, s45, s6
	s_cselect_b64 s[6:7], -1, 0
	s_cmp_lg_u64 s[6:7], 0
	v_add_co_u32_e32 v3, vcc, v0, v7
	s_addc_u32 s39, s43, s39
	v_xor_b32_e32 v8, v3, v7
	v_mad_u64_u32 v[3:4], s[6:7], v8, s39, 0
	v_mul_hi_u32 v6, v8, s42
	v_addc_co_u32_e32 v5, vcc, v1, v7, vcc
	v_xor_b32_e32 v9, v5, v7
	v_add_co_u32_e32 v10, vcc, v6, v3
	v_addc_co_u32_e32 v11, vcc, 0, v4, vcc
	v_mad_u64_u32 v[3:4], s[6:7], v9, s42, 0
	v_mad_u64_u32 v[5:6], s[6:7], v9, s39, 0
	v_add_co_u32_e32 v3, vcc, v10, v3
	v_addc_co_u32_e32 v3, vcc, v11, v4, vcc
	v_addc_co_u32_e32 v4, vcc, 0, v6, vcc
	v_add_co_u32_e32 v5, vcc, v3, v5
	v_addc_co_u32_e32 v6, vcc, 0, v4, vcc
	v_mul_lo_u32 v10, s41, v5
	v_mul_lo_u32 v11, s40, v6
	v_mad_u64_u32 v[3:4], s[6:7], s40, v5, 0
	v_add3_u32 v4, v4, v11, v10
	v_sub_u32_e32 v10, v9, v4
	v_mov_b32_e32 v11, s41
	v_sub_co_u32_e32 v3, vcc, v8, v3
	v_subb_co_u32_e64 v8, s[6:7], v10, v11, vcc
	v_subrev_co_u32_e64 v10, s[6:7], s40, v3
	v_subbrev_co_u32_e64 v8, s[6:7], 0, v8, s[6:7]
	v_cmp_le_u32_e64 s[6:7], s41, v8
	v_cndmask_b32_e64 v11, 0, -1, s[6:7]
	v_cmp_le_u32_e64 s[6:7], s40, v10
	v_cndmask_b32_e64 v10, 0, -1, s[6:7]
	v_cmp_eq_u32_e64 s[6:7], s41, v8
	v_cndmask_b32_e64 v8, v11, v10, s[6:7]
	v_add_co_u32_e64 v10, s[6:7], 2, v5
	v_subb_co_u32_e32 v4, vcc, v9, v4, vcc
	v_addc_co_u32_e64 v11, s[6:7], 0, v6, s[6:7]
	v_cmp_le_u32_e32 vcc, s41, v4
	v_add_co_u32_e64 v12, s[6:7], 1, v5
	v_cndmask_b32_e64 v9, 0, -1, vcc
	v_cmp_le_u32_e32 vcc, s40, v3
	v_addc_co_u32_e64 v13, s[6:7], 0, v6, s[6:7]
	v_cndmask_b32_e64 v3, 0, -1, vcc
	v_cmp_eq_u32_e32 vcc, s41, v4
	v_cmp_ne_u32_e64 s[6:7], 0, v8
	v_cndmask_b32_e32 v3, v9, v3, vcc
	v_cmp_ne_u32_e32 vcc, 0, v3
	v_cndmask_b32_e64 v4, v12, v10, s[6:7]
	v_cndmask_b32_e64 v8, v13, v11, s[6:7]
	v_cndmask_b32_e32 v4, v5, v4, vcc
	v_xor_b32_e32 v5, s38, v7
	v_cndmask_b32_e32 v3, v6, v8, vcc
	v_xor_b32_e32 v4, v4, v5
	v_xor_b32_e32 v3, v3, v5
	v_sub_co_u32_e32 v6, vcc, v4, v5
	v_subb_co_u32_e32 v7, vcc, v3, v5, vcc
.LBB2_37:                               ;   in Loop: Header=BB2_4 Depth=1
	s_andn2_saveexec_b64 s[6:7], s[8:9]
	s_cbranch_execz .LBB2_39
; %bb.38:                               ;   in Loop: Header=BB2_4 Depth=1
	v_cvt_f32_u32_e32 v3, s16
	s_sub_i32 s8, 0, s16
	v_mov_b32_e32 v7, v2
	v_rcp_iflag_f32_e32 v3, v3
	v_mul_f32_e32 v3, 0x4f7ffffe, v3
	v_cvt_u32_f32_e32 v3, v3
	v_mul_lo_u32 v4, s8, v3
	v_mul_hi_u32 v4, v3, v4
	v_add_u32_e32 v3, v3, v4
	v_mul_hi_u32 v3, v0, v3
	v_mul_lo_u32 v4, v3, s16
	v_add_u32_e32 v5, 1, v3
	v_sub_u32_e32 v4, v0, v4
	v_subrev_u32_e32 v6, s16, v4
	v_cmp_le_u32_e32 vcc, s16, v4
	v_cndmask_b32_e32 v4, v4, v6, vcc
	v_cndmask_b32_e32 v3, v3, v5, vcc
	v_add_u32_e32 v5, 1, v3
	v_cmp_le_u32_e32 vcc, s16, v4
	v_cndmask_b32_e32 v6, v3, v5, vcc
.LBB2_39:                               ;   in Loop: Header=BB2_4 Depth=1
	s_or_b64 exec, exec, s[6:7]
	v_mul_lo_u32 v5, v7, s16
	v_mul_lo_u32 v8, v6, s17
	v_mad_u64_u32 v[3:4], s[6:7], v6, s16, 0
	v_add3_u32 v4, v4, v8, v5
	v_sub_co_u32_e32 v3, vcc, v0, v3
	v_subb_co_u32_e32 v4, vcc, v1, v4, vcc
	v_mul_lo_u32 v8, s21, v3
	v_mul_lo_u32 v9, s20, v4
	v_mad_u64_u32 v[4:5], s[6:7], s20, v3, 0
	s_andn2_b64 vcc, exec, s[26:27]
	v_add3_u32 v5, v5, v9, v8
	s_cbranch_vccnz .LBB2_45
; %bb.40:                               ;   in Loop: Header=BB2_4 Depth=1
	v_or_b32_e32 v3, s19, v7
	v_cmp_ne_u64_e32 vcc, 0, v[2:3]
                                        ; implicit-def: $vgpr8_vgpr9
	s_and_saveexec_b64 s[6:7], vcc
	s_xor_b64 s[38:39], exec, s[6:7]
	s_cbranch_execz .LBB2_42
; %bb.41:                               ;   in Loop: Header=BB2_4 Depth=1
	s_ashr_i32 s6, s19, 31
	s_add_u32 s8, s18, s6
	s_mov_b32 s7, s6
	s_addc_u32 s9, s19, s6
	s_xor_b64 s[40:41], s[8:9], s[6:7]
	v_cvt_f32_u32_e32 v3, s40
	v_cvt_f32_u32_e32 v8, s41
	s_sub_u32 s8, 0, s40
	s_subb_u32 s9, 0, s41
	v_mac_f32_e32 v3, 0x4f800000, v8
	v_rcp_f32_e32 v3, v3
	v_mul_f32_e32 v3, 0x5f7ffffc, v3
	v_mul_f32_e32 v8, 0x2f800000, v3
	v_trunc_f32_e32 v8, v8
	v_mac_f32_e32 v3, 0xcf800000, v8
	v_cvt_u32_f32_e32 v8, v8
	v_cvt_u32_f32_e32 v3, v3
	v_readfirstlane_b32 s42, v8
	v_readfirstlane_b32 s6, v3
	s_mul_i32 s7, s8, s42
	s_mul_hi_u32 s44, s8, s6
	s_mul_i32 s43, s9, s6
	s_add_i32 s7, s44, s7
	s_add_i32 s7, s7, s43
	s_mul_i32 s45, s8, s6
	s_mul_i32 s44, s6, s7
	s_mul_hi_u32 s46, s6, s45
	s_mul_hi_u32 s43, s6, s7
	s_add_u32 s44, s46, s44
	s_addc_u32 s43, 0, s43
	s_mul_hi_u32 s47, s42, s45
	s_mul_i32 s45, s42, s45
	s_add_u32 s44, s44, s45
	s_mul_hi_u32 s46, s42, s7
	s_addc_u32 s43, s43, s47
	s_addc_u32 s44, s46, 0
	s_mul_i32 s7, s42, s7
	s_add_u32 s7, s43, s7
	s_addc_u32 s43, 0, s44
	s_add_u32 s44, s6, s7
	s_cselect_b64 s[6:7], -1, 0
	s_cmp_lg_u64 s[6:7], 0
	s_addc_u32 s42, s42, s43
	s_mul_i32 s6, s8, s42
	s_mul_hi_u32 s7, s8, s44
	s_add_i32 s6, s7, s6
	s_mul_i32 s9, s9, s44
	s_add_i32 s6, s6, s9
	s_mul_i32 s8, s8, s44
	s_mul_hi_u32 s9, s42, s8
	s_mul_i32 s43, s42, s8
	s_mul_i32 s46, s44, s6
	s_mul_hi_u32 s8, s44, s8
	s_mul_hi_u32 s45, s44, s6
	s_add_u32 s8, s8, s46
	s_addc_u32 s45, 0, s45
	s_add_u32 s8, s8, s43
	s_mul_hi_u32 s7, s42, s6
	s_addc_u32 s8, s45, s9
	s_addc_u32 s7, s7, 0
	s_mul_i32 s6, s42, s6
	s_add_u32 s6, s8, s6
	s_addc_u32 s8, 0, s7
	s_add_u32 s9, s44, s6
	s_cselect_b64 s[6:7], -1, 0
	v_ashrrev_i32_e32 v3, 31, v7
	s_cmp_lg_u64 s[6:7], 0
	v_add_co_u32_e32 v6, vcc, v6, v3
	s_addc_u32 s8, s42, s8
	v_xor_b32_e32 v10, v6, v3
	v_addc_co_u32_e32 v8, vcc, v7, v3, vcc
	v_mad_u64_u32 v[6:7], s[6:7], v10, s8, 0
	v_mul_hi_u32 v9, v10, s9
	v_xor_b32_e32 v11, v8, v3
	v_add_co_u32_e32 v12, vcc, v9, v6
	v_addc_co_u32_e32 v13, vcc, 0, v7, vcc
	v_mad_u64_u32 v[6:7], s[6:7], v11, s9, 0
	v_mad_u64_u32 v[8:9], s[6:7], v11, s8, 0
	v_add_co_u32_e32 v6, vcc, v12, v6
	v_addc_co_u32_e32 v6, vcc, v13, v7, vcc
	v_addc_co_u32_e32 v7, vcc, 0, v9, vcc
	v_add_co_u32_e32 v6, vcc, v6, v8
	v_addc_co_u32_e32 v7, vcc, 0, v7, vcc
	v_mul_lo_u32 v8, s41, v6
	v_mul_lo_u32 v9, s40, v7
	v_mad_u64_u32 v[6:7], s[6:7], s40, v6, 0
	v_add3_u32 v7, v7, v9, v8
	v_sub_u32_e32 v8, v11, v7
	v_mov_b32_e32 v9, s41
	v_sub_co_u32_e32 v6, vcc, v10, v6
	v_subb_co_u32_e64 v8, s[6:7], v8, v9, vcc
	v_subrev_co_u32_e64 v10, s[6:7], s40, v6
	v_subbrev_co_u32_e64 v12, s[8:9], 0, v8, s[6:7]
	v_cmp_le_u32_e64 s[8:9], s41, v12
	v_cndmask_b32_e64 v13, 0, -1, s[8:9]
	v_cmp_le_u32_e64 s[8:9], s40, v10
	v_subb_co_u32_e64 v8, s[6:7], v8, v9, s[6:7]
	v_cndmask_b32_e64 v14, 0, -1, s[8:9]
	v_cmp_eq_u32_e64 s[8:9], s41, v12
	v_subrev_co_u32_e64 v9, s[6:7], s40, v10
	v_subb_co_u32_e32 v7, vcc, v11, v7, vcc
	v_cndmask_b32_e64 v13, v13, v14, s[8:9]
	v_subbrev_co_u32_e64 v8, s[6:7], 0, v8, s[6:7]
	v_cmp_le_u32_e32 vcc, s41, v7
	v_cmp_ne_u32_e64 s[6:7], 0, v13
	v_cndmask_b32_e64 v11, 0, -1, vcc
	v_cmp_le_u32_e32 vcc, s40, v6
	v_cndmask_b32_e64 v8, v12, v8, s[6:7]
	v_cndmask_b32_e64 v12, 0, -1, vcc
	v_cmp_eq_u32_e32 vcc, s41, v7
	v_cndmask_b32_e32 v11, v11, v12, vcc
	v_cmp_ne_u32_e32 vcc, 0, v11
	v_cndmask_b32_e32 v7, v7, v8, vcc
	v_cndmask_b32_e64 v8, v10, v9, s[6:7]
	v_cndmask_b32_e32 v6, v6, v8, vcc
	v_xor_b32_e32 v6, v6, v3
	v_xor_b32_e32 v7, v7, v3
	v_sub_co_u32_e32 v8, vcc, v6, v3
	v_subb_co_u32_e32 v9, vcc, v7, v3, vcc
                                        ; implicit-def: $vgpr6_vgpr7
.LBB2_42:                               ;   in Loop: Header=BB2_4 Depth=1
	s_andn2_saveexec_b64 s[6:7], s[38:39]
	s_cbranch_execz .LBB2_44
; %bb.43:                               ;   in Loop: Header=BB2_4 Depth=1
	v_cvt_f32_u32_e32 v3, s18
	s_sub_i32 s8, 0, s18
	v_mov_b32_e32 v9, v2
	v_rcp_iflag_f32_e32 v3, v3
	v_mul_f32_e32 v3, 0x4f7ffffe, v3
	v_cvt_u32_f32_e32 v3, v3
	v_mul_lo_u32 v7, s8, v3
	v_mul_hi_u32 v7, v3, v7
	v_add_u32_e32 v3, v3, v7
	v_mul_hi_u32 v3, v6, v3
	v_mul_lo_u32 v3, v3, s18
	v_sub_u32_e32 v3, v6, v3
	v_subrev_u32_e32 v6, s18, v3
	v_cmp_le_u32_e32 vcc, s18, v3
	v_cndmask_b32_e32 v3, v3, v6, vcc
	v_subrev_u32_e32 v6, s18, v3
	v_cmp_le_u32_e32 vcc, s18, v3
	v_cndmask_b32_e32 v8, v3, v6, vcc
.LBB2_44:                               ;   in Loop: Header=BB2_4 Depth=1
	s_or_b64 exec, exec, s[6:7]
	v_mad_u64_u32 v[4:5], s[6:7], s22, v8, v[4:5]
	v_mul_lo_u32 v3, s22, v9
	v_mul_lo_u32 v6, s23, v8
	v_add3_u32 v5, v6, v5, v3
.LBB2_45:                               ;   in Loop: Header=BB2_4 Depth=1
	s_andn2_b64 vcc, exec, s[28:29]
	s_cbranch_vccnz .LBB2_2
; %bb.46:                               ;   in Loop: Header=BB2_4 Depth=1
	v_mov_b32_e32 v6, 0
	v_mov_b32_e32 v9, v1
	s_mov_b32 s46, 0
	v_mov_b32_e32 v7, 0
	s_mov_b64 s[8:9], s[34:35]
	v_mov_b32_e32 v8, v0
.LBB2_47:                               ;   Parent Loop BB2_4 Depth=1
                                        ; =>  This Inner Loop Header: Depth=2
	s_load_dwordx2 s[38:39], s[8:9], 0x0
                                        ; implicit-def: $vgpr10_vgpr11
	s_waitcnt lgkmcnt(0)
	v_or_b32_e32 v3, s39, v9
	v_cmp_ne_u64_e32 vcc, 0, v[2:3]
	s_and_saveexec_b64 s[6:7], vcc
	s_xor_b64 s[40:41], exec, s[6:7]
	s_cbranch_execz .LBB2_49
; %bb.48:                               ;   in Loop: Header=BB2_47 Depth=2
	s_ashr_i32 s42, s39, 31
	s_add_u32 s6, s38, s42
	s_mov_b32 s43, s42
	s_addc_u32 s7, s39, s42
	s_xor_b64 s[44:45], s[6:7], s[42:43]
	v_cvt_f32_u32_e32 v3, s44
	v_cvt_f32_u32_e32 v10, s45
	s_sub_u32 s43, 0, s44
	s_subb_u32 s47, 0, s45
	v_mac_f32_e32 v3, 0x4f800000, v10
	v_rcp_f32_e32 v3, v3
	v_mul_f32_e32 v3, 0x5f7ffffc, v3
	v_mul_f32_e32 v10, 0x2f800000, v3
	v_trunc_f32_e32 v10, v10
	v_mac_f32_e32 v3, 0xcf800000, v10
	v_cvt_u32_f32_e32 v10, v10
	v_cvt_u32_f32_e32 v3, v3
	v_readfirstlane_b32 s48, v10
	v_readfirstlane_b32 s6, v3
	s_mul_i32 s7, s43, s48
	s_mul_hi_u32 s50, s43, s6
	s_mul_i32 s49, s47, s6
	s_add_i32 s7, s50, s7
	s_add_i32 s7, s7, s49
	s_mul_i32 s51, s43, s6
	s_mul_i32 s50, s6, s7
	s_mul_hi_u32 s52, s6, s51
	s_mul_hi_u32 s49, s6, s7
	s_add_u32 s50, s52, s50
	s_addc_u32 s49, 0, s49
	s_mul_hi_u32 s53, s48, s51
	s_mul_i32 s51, s48, s51
	s_add_u32 s50, s50, s51
	s_mul_hi_u32 s52, s48, s7
	s_addc_u32 s49, s49, s53
	s_addc_u32 s50, s52, 0
	s_mul_i32 s7, s48, s7
	s_add_u32 s7, s49, s7
	s_addc_u32 s49, 0, s50
	s_add_u32 s50, s6, s7
	s_cselect_b64 s[6:7], -1, 0
	s_cmp_lg_u64 s[6:7], 0
	s_addc_u32 s48, s48, s49
	s_mul_i32 s6, s43, s48
	s_mul_hi_u32 s7, s43, s50
	s_add_i32 s6, s7, s6
	s_mul_i32 s47, s47, s50
	s_add_i32 s6, s6, s47
	s_mul_i32 s43, s43, s50
	s_mul_hi_u32 s47, s48, s43
	s_mul_i32 s49, s48, s43
	s_mul_i32 s52, s50, s6
	s_mul_hi_u32 s43, s50, s43
	s_mul_hi_u32 s51, s50, s6
	s_add_u32 s43, s43, s52
	s_addc_u32 s51, 0, s51
	s_add_u32 s43, s43, s49
	s_mul_hi_u32 s7, s48, s6
	s_addc_u32 s43, s51, s47
	s_addc_u32 s7, s7, 0
	s_mul_i32 s6, s48, s6
	s_add_u32 s6, s43, s6
	s_addc_u32 s43, 0, s7
	s_add_u32 s47, s50, s6
	s_cselect_b64 s[6:7], -1, 0
	v_ashrrev_i32_e32 v3, 31, v9
	s_cmp_lg_u64 s[6:7], 0
	v_add_co_u32_e32 v10, vcc, v8, v3
	s_addc_u32 s43, s48, s43
	v_xor_b32_e32 v14, v10, v3
	v_mad_u64_u32 v[10:11], s[6:7], v14, s43, 0
	v_mul_hi_u32 v13, v14, s47
	v_addc_co_u32_e32 v12, vcc, v9, v3, vcc
	v_xor_b32_e32 v15, v12, v3
	v_add_co_u32_e32 v16, vcc, v13, v10
	v_addc_co_u32_e32 v17, vcc, 0, v11, vcc
	v_mad_u64_u32 v[10:11], s[6:7], v15, s47, 0
	v_mad_u64_u32 v[12:13], s[6:7], v15, s43, 0
	v_add_co_u32_e32 v10, vcc, v16, v10
	v_addc_co_u32_e32 v10, vcc, v17, v11, vcc
	v_addc_co_u32_e32 v11, vcc, 0, v13, vcc
	v_add_co_u32_e32 v12, vcc, v10, v12
	v_addc_co_u32_e32 v13, vcc, 0, v11, vcc
	v_mul_lo_u32 v16, s45, v12
	v_mul_lo_u32 v17, s44, v13
	v_mad_u64_u32 v[10:11], s[6:7], s44, v12, 0
	v_xor_b32_e32 v3, s42, v3
	v_add3_u32 v11, v11, v17, v16
	v_sub_u32_e32 v16, v15, v11
	v_mov_b32_e32 v17, s45
	v_sub_co_u32_e32 v10, vcc, v14, v10
	v_subb_co_u32_e64 v14, s[6:7], v16, v17, vcc
	v_subrev_co_u32_e64 v16, s[6:7], s44, v10
	v_subbrev_co_u32_e64 v14, s[6:7], 0, v14, s[6:7]
	v_cmp_le_u32_e64 s[6:7], s45, v14
	v_cndmask_b32_e64 v17, 0, -1, s[6:7]
	v_cmp_le_u32_e64 s[6:7], s44, v16
	v_cndmask_b32_e64 v16, 0, -1, s[6:7]
	v_cmp_eq_u32_e64 s[6:7], s45, v14
	v_cndmask_b32_e64 v14, v17, v16, s[6:7]
	v_add_co_u32_e64 v16, s[6:7], 2, v12
	v_subb_co_u32_e32 v11, vcc, v15, v11, vcc
	v_addc_co_u32_e64 v17, s[6:7], 0, v13, s[6:7]
	v_cmp_le_u32_e32 vcc, s45, v11
	v_add_co_u32_e64 v18, s[6:7], 1, v12
	v_cndmask_b32_e64 v15, 0, -1, vcc
	v_cmp_le_u32_e32 vcc, s44, v10
	v_addc_co_u32_e64 v19, s[6:7], 0, v13, s[6:7]
	v_cndmask_b32_e64 v10, 0, -1, vcc
	v_cmp_eq_u32_e32 vcc, s45, v11
	v_cmp_ne_u32_e64 s[6:7], 0, v14
	v_cndmask_b32_e32 v10, v15, v10, vcc
	v_cndmask_b32_e64 v14, v19, v17, s[6:7]
	v_cmp_ne_u32_e32 vcc, 0, v10
	v_cndmask_b32_e64 v11, v18, v16, s[6:7]
	v_cndmask_b32_e32 v10, v13, v14, vcc
	v_cndmask_b32_e32 v11, v12, v11, vcc
	v_xor_b32_e32 v12, v10, v3
	v_xor_b32_e32 v10, v11, v3
	v_sub_co_u32_e32 v10, vcc, v10, v3
	v_subb_co_u32_e32 v11, vcc, v12, v3, vcc
.LBB2_49:                               ;   in Loop: Header=BB2_47 Depth=2
	s_andn2_saveexec_b64 s[6:7], s[40:41]
	s_cbranch_execz .LBB2_51
; %bb.50:                               ;   in Loop: Header=BB2_47 Depth=2
	v_cvt_f32_u32_e32 v3, s38
	s_sub_i32 s40, 0, s38
	v_rcp_iflag_f32_e32 v3, v3
	v_mul_f32_e32 v3, 0x4f7ffffe, v3
	v_cvt_u32_f32_e32 v3, v3
	v_mul_lo_u32 v10, s40, v3
	v_mul_hi_u32 v10, v3, v10
	v_add_u32_e32 v3, v3, v10
	v_mul_hi_u32 v3, v8, v3
	v_mul_lo_u32 v10, v3, s38
	v_add_u32_e32 v11, 1, v3
	v_sub_u32_e32 v10, v8, v10
	v_subrev_u32_e32 v12, s38, v10
	v_cmp_le_u32_e32 vcc, s38, v10
	v_cndmask_b32_e32 v10, v10, v12, vcc
	v_cndmask_b32_e32 v3, v3, v11, vcc
	v_add_u32_e32 v11, 1, v3
	v_cmp_le_u32_e32 vcc, s38, v10
	v_cndmask_b32_e32 v10, v3, v11, vcc
	v_mov_b32_e32 v11, v2
.LBB2_51:                               ;   in Loop: Header=BB2_47 Depth=2
	s_or_b64 exec, exec, s[6:7]
	v_mul_lo_u32 v3, v11, s38
	v_mul_lo_u32 v14, v10, s39
	v_mad_u64_u32 v[12:13], s[6:7], v10, s38, 0
	s_lshr_b32 s6, s59, s46
	s_bitcmp0_b32 s6, 0
	v_add3_u32 v3, v13, v14, v3
	v_sub_co_u32_e32 v8, vcc, v8, v12
	v_subb_co_u32_e32 v9, vcc, v9, v3, vcc
	s_cbranch_scc1 .LBB2_58
; %bb.52:                               ;   in Loop: Header=BB2_47 Depth=2
	v_cmp_ne_u64_e32 vcc, 0, v[8:9]
	s_mov_b64 s[6:7], 0
	s_and_saveexec_b64 s[40:41], vcc
; %bb.53:                               ;   in Loop: Header=BB2_47 Depth=2
	v_mov_b32_e32 v3, s39
	v_sub_co_u32_e32 v8, vcc, s38, v8
	s_mov_b64 s[6:7], exec
	v_subb_co_u32_e32 v9, vcc, v3, v9, vcc
; %bb.54:                               ;   in Loop: Header=BB2_47 Depth=2
	s_or_b64 exec, exec, s[40:41]
	s_and_saveexec_b64 s[38:39], s[6:7]
	s_cbranch_execz .LBB2_56
.LBB2_55:                               ;   in Loop: Header=BB2_47 Depth=2
	s_load_dwordx2 s[6:7], s[8:9], 0x80
	s_waitcnt lgkmcnt(0)
	v_mad_u64_u32 v[6:7], s[40:41], s6, v8, v[6:7]
	v_mul_lo_u32 v3, s6, v9
	v_mul_lo_u32 v8, s7, v8
	v_add3_u32 v7, v8, v7, v3
.LBB2_56:                               ;   in Loop: Header=BB2_47 Depth=2
	s_or_b64 exec, exec, s[38:39]
	s_add_i32 s46, s46, 1
	s_add_u32 s8, s8, 8
	s_addc_u32 s9, s9, 0
	s_cmp_lg_u32 s58, s46
	s_cbranch_scc0 .LBB2_3
; %bb.57:                               ;   in Loop: Header=BB2_47 Depth=2
	v_mov_b32_e32 v8, v10
	v_mov_b32_e32 v9, v11
	s_branch .LBB2_47
.LBB2_58:                               ;   in Loop: Header=BB2_47 Depth=2
	s_mov_b64 s[6:7], -1
	s_and_saveexec_b64 s[38:39], s[6:7]
	s_cbranch_execnz .LBB2_55
	s_branch .LBB2_56
.LBB2_59:
	s_endpgm
	.section	.rodata,"a",@progbits
	.p2align	6, 0x0
	.amdhsa_kernel _ZN2at6native26_fft_conjugate_copy_kernelIN3c107complexINS2_4HalfEEE16OffsetCalculatorILi1ElLb0EENS0_33HermitianSymmetryOffsetCalculatorIlEEEEvlPT_PKSA_T0_T1_
		.amdhsa_group_segment_fixed_size 0
		.amdhsa_private_segment_fixed_size 0
		.amdhsa_kernarg_size 816
		.amdhsa_user_sgpr_count 6
		.amdhsa_user_sgpr_private_segment_buffer 1
		.amdhsa_user_sgpr_dispatch_ptr 0
		.amdhsa_user_sgpr_queue_ptr 0
		.amdhsa_user_sgpr_kernarg_segment_ptr 1
		.amdhsa_user_sgpr_dispatch_id 0
		.amdhsa_user_sgpr_flat_scratch_init 0
		.amdhsa_user_sgpr_private_segment_size 0
		.amdhsa_uses_dynamic_stack 0
		.amdhsa_system_sgpr_private_segment_wavefront_offset 0
		.amdhsa_system_sgpr_workgroup_id_x 1
		.amdhsa_system_sgpr_workgroup_id_y 0
		.amdhsa_system_sgpr_workgroup_id_z 0
		.amdhsa_system_sgpr_workgroup_info 0
		.amdhsa_system_vgpr_workitem_id 0
		.amdhsa_next_free_vgpr 24
		.amdhsa_next_free_sgpr 72
		.amdhsa_reserve_vcc 1
		.amdhsa_reserve_flat_scratch 0
		.amdhsa_float_round_mode_32 0
		.amdhsa_float_round_mode_16_64 0
		.amdhsa_float_denorm_mode_32 3
		.amdhsa_float_denorm_mode_16_64 3
		.amdhsa_dx10_clamp 1
		.amdhsa_ieee_mode 1
		.amdhsa_fp16_overflow 0
		.amdhsa_exception_fp_ieee_invalid_op 0
		.amdhsa_exception_fp_denorm_src 0
		.amdhsa_exception_fp_ieee_div_zero 0
		.amdhsa_exception_fp_ieee_overflow 0
		.amdhsa_exception_fp_ieee_underflow 0
		.amdhsa_exception_fp_ieee_inexact 0
		.amdhsa_exception_int_div_zero 0
	.end_amdhsa_kernel
	.section	.text._ZN2at6native26_fft_conjugate_copy_kernelIN3c107complexINS2_4HalfEEE16OffsetCalculatorILi1ElLb0EENS0_33HermitianSymmetryOffsetCalculatorIlEEEEvlPT_PKSA_T0_T1_,"axG",@progbits,_ZN2at6native26_fft_conjugate_copy_kernelIN3c107complexINS2_4HalfEEE16OffsetCalculatorILi1ElLb0EENS0_33HermitianSymmetryOffsetCalculatorIlEEEEvlPT_PKSA_T0_T1_,comdat
.Lfunc_end2:
	.size	_ZN2at6native26_fft_conjugate_copy_kernelIN3c107complexINS2_4HalfEEE16OffsetCalculatorILi1ElLb0EENS0_33HermitianSymmetryOffsetCalculatorIlEEEEvlPT_PKSA_T0_T1_, .Lfunc_end2-_ZN2at6native26_fft_conjugate_copy_kernelIN3c107complexINS2_4HalfEEE16OffsetCalculatorILi1ElLb0EENS0_33HermitianSymmetryOffsetCalculatorIlEEEEvlPT_PKSA_T0_T1_
                                        ; -- End function
	.set _ZN2at6native26_fft_conjugate_copy_kernelIN3c107complexINS2_4HalfEEE16OffsetCalculatorILi1ElLb0EENS0_33HermitianSymmetryOffsetCalculatorIlEEEEvlPT_PKSA_T0_T1_.num_vgpr, 24
	.set _ZN2at6native26_fft_conjugate_copy_kernelIN3c107complexINS2_4HalfEEE16OffsetCalculatorILi1ElLb0EENS0_33HermitianSymmetryOffsetCalculatorIlEEEEvlPT_PKSA_T0_T1_.num_agpr, 0
	.set _ZN2at6native26_fft_conjugate_copy_kernelIN3c107complexINS2_4HalfEEE16OffsetCalculatorILi1ElLb0EENS0_33HermitianSymmetryOffsetCalculatorIlEEEEvlPT_PKSA_T0_T1_.numbered_sgpr, 72
	.set _ZN2at6native26_fft_conjugate_copy_kernelIN3c107complexINS2_4HalfEEE16OffsetCalculatorILi1ElLb0EENS0_33HermitianSymmetryOffsetCalculatorIlEEEEvlPT_PKSA_T0_T1_.num_named_barrier, 0
	.set _ZN2at6native26_fft_conjugate_copy_kernelIN3c107complexINS2_4HalfEEE16OffsetCalculatorILi1ElLb0EENS0_33HermitianSymmetryOffsetCalculatorIlEEEEvlPT_PKSA_T0_T1_.private_seg_size, 0
	.set _ZN2at6native26_fft_conjugate_copy_kernelIN3c107complexINS2_4HalfEEE16OffsetCalculatorILi1ElLb0EENS0_33HermitianSymmetryOffsetCalculatorIlEEEEvlPT_PKSA_T0_T1_.uses_vcc, 1
	.set _ZN2at6native26_fft_conjugate_copy_kernelIN3c107complexINS2_4HalfEEE16OffsetCalculatorILi1ElLb0EENS0_33HermitianSymmetryOffsetCalculatorIlEEEEvlPT_PKSA_T0_T1_.uses_flat_scratch, 0
	.set _ZN2at6native26_fft_conjugate_copy_kernelIN3c107complexINS2_4HalfEEE16OffsetCalculatorILi1ElLb0EENS0_33HermitianSymmetryOffsetCalculatorIlEEEEvlPT_PKSA_T0_T1_.has_dyn_sized_stack, 0
	.set _ZN2at6native26_fft_conjugate_copy_kernelIN3c107complexINS2_4HalfEEE16OffsetCalculatorILi1ElLb0EENS0_33HermitianSymmetryOffsetCalculatorIlEEEEvlPT_PKSA_T0_T1_.has_recursion, 0
	.set _ZN2at6native26_fft_conjugate_copy_kernelIN3c107complexINS2_4HalfEEE16OffsetCalculatorILi1ElLb0EENS0_33HermitianSymmetryOffsetCalculatorIlEEEEvlPT_PKSA_T0_T1_.has_indirect_call, 0
	.section	.AMDGPU.csdata,"",@progbits
; Kernel info:
; codeLenInByte = 7256
; TotalNumSgprs: 76
; NumVgprs: 24
; ScratchSize: 0
; MemoryBound: 0
; FloatMode: 240
; IeeeMode: 1
; LDSByteSize: 0 bytes/workgroup (compile time only)
; SGPRBlocks: 9
; VGPRBlocks: 5
; NumSGPRsForWavesPerEU: 76
; NumVGPRsForWavesPerEU: 24
; Occupancy: 10
; WaveLimiterHint : 1
; COMPUTE_PGM_RSRC2:SCRATCH_EN: 0
; COMPUTE_PGM_RSRC2:USER_SGPR: 6
; COMPUTE_PGM_RSRC2:TRAP_HANDLER: 0
; COMPUTE_PGM_RSRC2:TGID_X_EN: 1
; COMPUTE_PGM_RSRC2:TGID_Y_EN: 0
; COMPUTE_PGM_RSRC2:TGID_Z_EN: 0
; COMPUTE_PGM_RSRC2:TIDIG_COMP_CNT: 0
	.section	.AMDGPU.gpr_maximums,"",@progbits
	.set amdgpu.max_num_vgpr, 0
	.set amdgpu.max_num_agpr, 0
	.set amdgpu.max_num_sgpr, 0
	.section	.AMDGPU.csdata,"",@progbits
	.type	__hip_cuid_4ed0a81880ace4c,@object ; @__hip_cuid_4ed0a81880ace4c
	.section	.bss,"aw",@nobits
	.globl	__hip_cuid_4ed0a81880ace4c
__hip_cuid_4ed0a81880ace4c:
	.byte	0                               ; 0x0
	.size	__hip_cuid_4ed0a81880ace4c, 1

	.ident	"AMD clang version 22.0.0git (https://github.com/RadeonOpenCompute/llvm-project roc-7.2.4 26084 f58b06dce1f9c15707c5f808fd002e18c2accf7e)"
	.section	".note.GNU-stack","",@progbits
	.addrsig
	.addrsig_sym __hip_cuid_4ed0a81880ace4c
	.amdgpu_metadata
---
amdhsa.kernels:
  - .args:
      - .offset:         0
        .size:           8
        .value_kind:     by_value
      - .address_space:  global
        .offset:         8
        .size:           8
        .value_kind:     global_buffer
      - .address_space:  global
        .offset:         16
        .size:           8
        .value_kind:     global_buffer
      - .offset:         24
        .size:           264
        .value_kind:     by_value
      - .offset:         288
        .size:           272
        .value_kind:     by_value
      - .offset:         560
        .size:           4
        .value_kind:     hidden_block_count_x
      - .offset:         564
        .size:           4
        .value_kind:     hidden_block_count_y
      - .offset:         568
        .size:           4
        .value_kind:     hidden_block_count_z
      - .offset:         572
        .size:           2
        .value_kind:     hidden_group_size_x
      - .offset:         574
        .size:           2
        .value_kind:     hidden_group_size_y
      - .offset:         576
        .size:           2
        .value_kind:     hidden_group_size_z
      - .offset:         578
        .size:           2
        .value_kind:     hidden_remainder_x
      - .offset:         580
        .size:           2
        .value_kind:     hidden_remainder_y
      - .offset:         582
        .size:           2
        .value_kind:     hidden_remainder_z
      - .offset:         600
        .size:           8
        .value_kind:     hidden_global_offset_x
      - .offset:         608
        .size:           8
        .value_kind:     hidden_global_offset_y
      - .offset:         616
        .size:           8
        .value_kind:     hidden_global_offset_z
      - .offset:         624
        .size:           2
        .value_kind:     hidden_grid_dims
    .group_segment_fixed_size: 0
    .kernarg_segment_align: 8
    .kernarg_segment_size: 816
    .language:       OpenCL C
    .language_version:
      - 2
      - 0
    .max_flat_workgroup_size: 1024
    .name:           _ZN2at6native26_fft_conjugate_copy_kernelIN3c107complexIdEE16OffsetCalculatorILi1ElLb0EENS0_33HermitianSymmetryOffsetCalculatorIlEEEEvlPT_PKS9_T0_T1_
    .private_segment_fixed_size: 0
    .sgpr_count:     74
    .sgpr_spill_count: 0
    .symbol:         _ZN2at6native26_fft_conjugate_copy_kernelIN3c107complexIdEE16OffsetCalculatorILi1ElLb0EENS0_33HermitianSymmetryOffsetCalculatorIlEEEEvlPT_PKS9_T0_T1_.kd
    .uniform_work_group_size: 1
    .uses_dynamic_stack: false
    .vgpr_count:     24
    .vgpr_spill_count: 0
    .wavefront_size: 64
  - .args:
      - .offset:         0
        .size:           8
        .value_kind:     by_value
      - .address_space:  global
        .offset:         8
        .size:           8
        .value_kind:     global_buffer
      - .address_space:  global
        .offset:         16
        .size:           8
        .value_kind:     global_buffer
      - .offset:         24
        .size:           264
        .value_kind:     by_value
      - .offset:         288
        .size:           272
        .value_kind:     by_value
      - .offset:         560
        .size:           4
        .value_kind:     hidden_block_count_x
      - .offset:         564
        .size:           4
        .value_kind:     hidden_block_count_y
      - .offset:         568
        .size:           4
        .value_kind:     hidden_block_count_z
      - .offset:         572
        .size:           2
        .value_kind:     hidden_group_size_x
      - .offset:         574
        .size:           2
        .value_kind:     hidden_group_size_y
      - .offset:         576
        .size:           2
        .value_kind:     hidden_group_size_z
      - .offset:         578
        .size:           2
        .value_kind:     hidden_remainder_x
      - .offset:         580
        .size:           2
        .value_kind:     hidden_remainder_y
      - .offset:         582
        .size:           2
        .value_kind:     hidden_remainder_z
      - .offset:         600
        .size:           8
        .value_kind:     hidden_global_offset_x
      - .offset:         608
        .size:           8
        .value_kind:     hidden_global_offset_y
      - .offset:         616
        .size:           8
        .value_kind:     hidden_global_offset_z
      - .offset:         624
        .size:           2
        .value_kind:     hidden_grid_dims
    .group_segment_fixed_size: 0
    .kernarg_segment_align: 8
    .kernarg_segment_size: 816
    .language:       OpenCL C
    .language_version:
      - 2
      - 0
    .max_flat_workgroup_size: 1024
    .name:           _ZN2at6native26_fft_conjugate_copy_kernelIN3c107complexIfEE16OffsetCalculatorILi1ElLb0EENS0_33HermitianSymmetryOffsetCalculatorIlEEEEvlPT_PKS9_T0_T1_
    .private_segment_fixed_size: 0
    .sgpr_count:     74
    .sgpr_spill_count: 0
    .symbol:         _ZN2at6native26_fft_conjugate_copy_kernelIN3c107complexIfEE16OffsetCalculatorILi1ElLb0EENS0_33HermitianSymmetryOffsetCalculatorIlEEEEvlPT_PKS9_T0_T1_.kd
    .uniform_work_group_size: 1
    .uses_dynamic_stack: false
    .vgpr_count:     24
    .vgpr_spill_count: 0
    .wavefront_size: 64
  - .args:
      - .offset:         0
        .size:           8
        .value_kind:     by_value
      - .address_space:  global
        .offset:         8
        .size:           8
        .value_kind:     global_buffer
      - .address_space:  global
        .offset:         16
        .size:           8
        .value_kind:     global_buffer
      - .offset:         24
        .size:           264
        .value_kind:     by_value
      - .offset:         288
        .size:           272
        .value_kind:     by_value
      - .offset:         560
        .size:           4
        .value_kind:     hidden_block_count_x
      - .offset:         564
        .size:           4
        .value_kind:     hidden_block_count_y
      - .offset:         568
        .size:           4
        .value_kind:     hidden_block_count_z
      - .offset:         572
        .size:           2
        .value_kind:     hidden_group_size_x
      - .offset:         574
        .size:           2
        .value_kind:     hidden_group_size_y
      - .offset:         576
        .size:           2
        .value_kind:     hidden_group_size_z
      - .offset:         578
        .size:           2
        .value_kind:     hidden_remainder_x
      - .offset:         580
        .size:           2
        .value_kind:     hidden_remainder_y
      - .offset:         582
        .size:           2
        .value_kind:     hidden_remainder_z
      - .offset:         600
        .size:           8
        .value_kind:     hidden_global_offset_x
      - .offset:         608
        .size:           8
        .value_kind:     hidden_global_offset_y
      - .offset:         616
        .size:           8
        .value_kind:     hidden_global_offset_z
      - .offset:         624
        .size:           2
        .value_kind:     hidden_grid_dims
    .group_segment_fixed_size: 0
    .kernarg_segment_align: 8
    .kernarg_segment_size: 816
    .language:       OpenCL C
    .language_version:
      - 2
      - 0
    .max_flat_workgroup_size: 1024
    .name:           _ZN2at6native26_fft_conjugate_copy_kernelIN3c107complexINS2_4HalfEEE16OffsetCalculatorILi1ElLb0EENS0_33HermitianSymmetryOffsetCalculatorIlEEEEvlPT_PKSA_T0_T1_
    .private_segment_fixed_size: 0
    .sgpr_count:     76
    .sgpr_spill_count: 0
    .symbol:         _ZN2at6native26_fft_conjugate_copy_kernelIN3c107complexINS2_4HalfEEE16OffsetCalculatorILi1ElLb0EENS0_33HermitianSymmetryOffsetCalculatorIlEEEEvlPT_PKSA_T0_T1_.kd
    .uniform_work_group_size: 1
    .uses_dynamic_stack: false
    .vgpr_count:     24
    .vgpr_spill_count: 0
    .wavefront_size: 64
amdhsa.target:   amdgcn-amd-amdhsa--gfx906
amdhsa.version:
  - 1
  - 2
...

	.end_amdgpu_metadata
